;; amdgpu-corpus repo=ROCm/rocFFT kind=compiled arch=gfx950 opt=O3
	.text
	.amdgcn_target "amdgcn-amd-amdhsa--gfx950"
	.amdhsa_code_object_version 6
	.protected	bluestein_single_fwd_len1500_dim1_sp_op_CI_CI ; -- Begin function bluestein_single_fwd_len1500_dim1_sp_op_CI_CI
	.globl	bluestein_single_fwd_len1500_dim1_sp_op_CI_CI
	.p2align	8
	.type	bluestein_single_fwd_len1500_dim1_sp_op_CI_CI,@function
bluestein_single_fwd_len1500_dim1_sp_op_CI_CI: ; @bluestein_single_fwd_len1500_dim1_sp_op_CI_CI
; %bb.0:
	s_load_dwordx4 s[12:15], s[0:1], 0x28
	v_mul_u32_u24_e32 v1, 0x1b5, v0
	v_mov_b32_e32 v67, 0
	v_add_u32_sdwa v78, s2, v1 dst_sel:DWORD dst_unused:UNUSED_PAD src0_sel:DWORD src1_sel:WORD_1
	v_mov_b32_e32 v79, v67
	s_waitcnt lgkmcnt(0)
	v_cmp_gt_u64_e32 vcc, s[12:13], v[78:79]
	s_and_saveexec_b64 s[2:3], vcc
	s_cbranch_execz .LBB0_10
; %bb.1:
	s_load_dwordx4 s[4:7], s[0:1], 0x18
	s_load_dwordx4 s[8:11], s[0:1], 0x0
	v_mov_b32_e32 v2, s14
	v_mov_b32_e32 v3, s15
	s_movk_i32 s2, 0x96
	s_waitcnt lgkmcnt(0)
	s_load_dwordx4 s[12:15], s[4:5], 0x0
	v_mul_lo_u16_sdwa v1, v1, s2 dst_sel:DWORD dst_unused:UNUSED_PAD src0_sel:WORD_1 src1_sel:DWORD
	v_sub_u16_e32 v66, v0, v1
	v_mov_b32_e32 v22, 0x960
	v_lshlrev_b32_e32 v64, 3, v66
	s_waitcnt lgkmcnt(0)
	v_mad_u64_u32 v[0:1], s[2:3], s14, v78, 0
	v_mov_b32_e32 v4, v1
	v_mad_u64_u32 v[4:5], s[2:3], s15, v78, v[4:5]
	v_mov_b32_e32 v1, v4
	v_mad_u64_u32 v[4:5], s[2:3], s12, v66, 0
	v_mov_b32_e32 v6, v5
	v_mad_u64_u32 v[6:7], s[2:3], s13, v66, v[6:7]
	v_mov_b32_e32 v5, v6
	v_lshl_add_u64 v[0:1], v[0:1], 3, v[2:3]
	v_lshl_add_u64 v[0:1], v[4:5], 3, v[0:1]
	global_load_dwordx2 v[2:3], v[0:1], off
	v_mad_u64_u32 v[0:1], s[2:3], s12, v22, v[0:1]
	s_mul_i32 s4, s13, 0x960
	v_add_u32_e32 v1, s4, v1
	v_mov_b32_e32 v65, v67
	v_mad_u64_u32 v[6:7], s[2:3], s12, v22, v[0:1]
	v_lshl_add_u64 v[4:5], s[8:9], 0, v[64:65]
	s_movk_i32 s2, 0x1000
	v_add_co_u32_e32 v8, vcc, s2, v4
	global_load_dwordx2 v[88:89], v64, s[8:9]
	global_load_dwordx2 v[86:87], v64, s[8:9] offset:2400
	v_add_u32_e32 v7, s4, v7
	v_addc_co_u32_e32 v9, vcc, 0, v5, vcc
	global_load_dwordx2 v[82:83], v[8:9], off offset:704
	v_mad_u64_u32 v[10:11], s[2:3], s12, v22, v[6:7]
	global_load_dwordx2 v[74:75], v[8:9], off offset:3104
	global_load_dwordx2 v[12:13], v[0:1], off
	v_add_u32_e32 v11, s4, v11
	v_mad_u64_u32 v[0:1], s[2:3], s12, v22, v[10:11]
	v_add_u32_e32 v1, s4, v1
	global_load_dwordx2 v[14:15], v[6:7], off
	global_load_dwordx2 v[16:17], v[10:11], off
	;; [unrolled: 1-line block ×3, first 2 shown]
	s_movk_i32 s2, 0x2000
	v_mov_b32_e32 v6, 0xffffdf30
	v_add_co_u32_e32 v4, vcc, s2, v4
	v_mad_u64_u32 v[0:1], s[2:3], s12, v6, v[0:1]
	s_nop 0
	v_addc_co_u32_e32 v5, vcc, 0, v5, vcc
	s_mul_i32 s2, s13, 0xffffdf30
	global_load_dwordx2 v[76:77], v[4:5], off offset:1408
	s_sub_i32 s2, s2, s12
	v_add_u32_e32 v1, s2, v1
	global_load_dwordx2 v[6:7], v[0:1], off
	global_load_dwordx2 v[72:73], v64, s[8:9] offset:3600
	global_load_dwordx2 v[84:85], v64, s[8:9] offset:1200
	v_mad_u64_u32 v[0:1], s[2:3], s12, v22, v[0:1]
	v_add_u32_e32 v1, s4, v1
	global_load_dwordx2 v[10:11], v[0:1], off
	v_mad_u64_u32 v[0:1], s[2:3], s12, v22, v[0:1]
	v_add_u32_e32 v1, s4, v1
	global_load_dwordx2 v[20:21], v[0:1], off
	global_load_dwordx2 v[68:69], v[4:5], off offset:208
	global_load_dwordx2 v[80:81], v[8:9], off offset:1904
	v_mad_u64_u32 v[0:1], s[2:3], s12, v22, v[0:1]
	v_add_u32_e32 v1, s4, v1
	global_load_dwordx2 v[8:9], v[0:1], off
	v_mad_u64_u32 v[0:1], s[2:3], s12, v22, v[0:1]
	v_add_u32_e32 v1, s4, v1
	global_load_dwordx2 v[70:71], v[4:5], off offset:2608
	global_load_dwordx2 v[22:23], v[0:1], off
	v_add_u32_e32 v34, 0x800, v64
	v_add_u32_e32 v37, 0x1000, v64
	;; [unrolled: 1-line block ×4, first 2 shown]
	s_load_dwordx4 s[4:7], s[6:7], 0x0
	s_mov_b32 s12, 0x3f737871
	s_mov_b32 s2, 0x3f167918
	;; [unrolled: 1-line block ×3, first 2 shown]
	s_mov_b64 s[16:17], 0x96
	s_mov_b32 s18, 0xbf737871
	s_mov_b32 s19, s12
	s_mov_b32 s20, 0xbf167918
	s_mov_b32 s21, s2
	v_add_u32_e32 v142, 0x1400, v64
                                        ; implicit-def: $vgpr140
                                        ; implicit-def: $vgpr136
                                        ; implicit-def: $vgpr134
                                        ; implicit-def: $vgpr138
	s_waitcnt vmcnt(18)
	v_mul_f32_e32 v0, v3, v89
	v_mul_f32_e32 v1, v2, v89
	v_fmac_f32_e32 v0, v2, v88
	v_fma_f32 v1, v3, v88, -v1
	s_waitcnt vmcnt(14)
	v_mul_f32_e32 v2, v13, v87
	v_mul_f32_e32 v3, v12, v87
	v_fmac_f32_e32 v2, v12, v86
	v_fma_f32 v3, v13, v86, -v3
	ds_write_b64 v64, v[2:3] offset:2400
	s_waitcnt vmcnt(13)
	v_mul_f32_e32 v2, v15, v83
	v_mul_f32_e32 v3, v14, v83
	v_fmac_f32_e32 v2, v14, v82
	v_fma_f32 v3, v15, v82, -v3
	ds_write_b64 v64, v[2:3] offset:4800
	;; [unrolled: 6-line block ×4, first 2 shown]
	s_waitcnt vmcnt(7)
	v_mul_f32_e32 v2, v7, v85
	v_mul_f32_e32 v3, v6, v85
	v_fmac_f32_e32 v2, v6, v84
	v_fma_f32 v3, v7, v84, -v3
	ds_write2_b64 v64, v[0:1], v[2:3] offset1:150
	s_waitcnt vmcnt(6)
	v_mul_f32_e32 v0, v11, v73
	v_mul_f32_e32 v1, v10, v73
	v_fmac_f32_e32 v0, v10, v72
	v_fma_f32 v1, v11, v72, -v1
	ds_write_b64 v64, v[0:1] offset:3600
	s_waitcnt vmcnt(3)
	v_mul_f32_e32 v0, v21, v81
	v_mul_f32_e32 v1, v20, v81
	v_fmac_f32_e32 v0, v20, v80
	v_fma_f32 v1, v21, v80, -v1
	ds_write_b64 v64, v[0:1] offset:6000
	;; [unrolled: 6-line block ×4, first 2 shown]
	s_waitcnt lgkmcnt(0)
	s_barrier
	ds_read2_b64 v[4:7], v34 offset0:44 offset1:194
	ds_read2_b64 v[8:11], v37 offset0:88 offset1:238
	;; [unrolled: 1-line block ×4, first 2 shown]
	ds_read2_b64 v[0:3], v64 offset1:150
	s_waitcnt lgkmcnt(0)
	v_pk_add_f32 v[26:27], v[4:5], v[8:9] neg_lo:[0,1] neg_hi:[0,1]
	v_pk_add_f32 v[20:21], v[8:9], v[12:13]
	v_pk_add_f32 v[22:23], v[4:5], v[16:17] neg_lo:[0,1] neg_hi:[0,1]
	v_pk_fma_f32 v[20:21], v[20:21], 0.5, v[0:1] op_sel_hi:[1,0,1] neg_lo:[1,0,0] neg_hi:[1,0,0]
	v_pk_mul_f32 v[24:25], v[22:23], s[12:13] op_sel_hi:[1,0]
	v_pk_add_f32 v[28:29], v[16:17], v[12:13] neg_lo:[0,1] neg_hi:[0,1]
	s_barrier
	v_pk_add_f32 v[26:27], v[26:27], v[28:29]
	v_pk_add_f32 v[28:29], v[20:21], v[24:25] op_sel:[0,1] op_sel_hi:[1,0]
	v_pk_add_f32 v[20:21], v[20:21], v[24:25] op_sel:[0,1] op_sel_hi:[1,0] neg_lo:[0,1] neg_hi:[0,1]
	v_pk_add_f32 v[24:25], v[8:9], v[12:13] neg_lo:[0,1] neg_hi:[0,1]
	s_nop 0
	v_pk_mul_f32 v[30:31], v[24:25], s[2:3] op_sel_hi:[1,0]
	s_nop 0
	v_pk_add_f32 v[20:21], v[20:21], v[30:31] op_sel:[0,1] op_sel_hi:[1,0] neg_lo:[0,1] neg_hi:[0,1]
	v_pk_add_f32 v[28:29], v[28:29], v[30:31] op_sel:[0,1] op_sel_hi:[1,0]
	v_mul_lo_u16_e32 v30, 5, v66
	v_lshlrev_b32_e32 v65, 3, v30
	v_pk_add_f32 v[30:31], v[0:1], v[4:5]
	v_mov_b32_e32 v33, v21
	v_pk_add_f32 v[30:31], v[30:31], v[8:9]
	v_pk_add_f32 v[8:9], v[8:9], v[4:5] neg_lo:[0,1] neg_hi:[0,1]
	v_pk_add_f32 v[4:5], v[4:5], v[16:17]
	v_pk_add_f32 v[30:31], v[30:31], v[12:13]
	v_pk_add_f32 v[12:13], v[12:13], v[16:17] neg_lo:[0,1] neg_hi:[0,1]
	v_pk_fma_f32 v[0:1], v[4:5], 0.5, v[0:1] op_sel_hi:[1,0,1] neg_lo:[1,0,0] neg_hi:[1,0,0]
	v_pk_mul_f32 v[4:5], v[24:25], s[12:13] op_sel_hi:[1,0]
	v_pk_add_f32 v[8:9], v[8:9], v[12:13]
	v_pk_add_f32 v[12:13], v[0:1], v[4:5] op_sel:[0,1] op_sel_hi:[1,0] neg_lo:[0,1] neg_hi:[0,1]
	v_pk_add_f32 v[0:1], v[0:1], v[4:5] op_sel:[0,1] op_sel_hi:[1,0]
	v_pk_mul_f32 v[4:5], v[22:23], s[2:3] op_sel_hi:[1,0]
	v_mov_b32_e32 v21, v29
	v_pk_add_f32 v[0:1], v[0:1], v[4:5] op_sel:[0,1] op_sel_hi:[1,0] neg_lo:[0,1] neg_hi:[0,1]
	v_pk_add_f32 v[4:5], v[12:13], v[4:5] op_sel:[0,1] op_sel_hi:[1,0]
	v_mov_b32_e32 v13, v1
	v_mov_b32_e32 v12, v4
	;; [unrolled: 1-line block ×3, first 2 shown]
	v_pk_fma_f32 v[4:5], v[8:9], s[14:15], v[12:13] op_sel_hi:[1,0,1]
	v_pk_fma_f32 v[0:1], v[8:9], s[14:15], v[0:1] op_sel_hi:[1,0,1]
	ds_write2_b64 v65, v[4:5], v[0:1] offset0:2 offset1:3
	v_pk_fma_f32 v[0:1], v[26:27], s[14:15], v[20:21] op_sel_hi:[1,0,1]
	ds_write_b64 v65, v[0:1] offset:32
	v_pk_add_f32 v[0:1], v[10:11], v[14:15]
	v_pk_add_f32 v[4:5], v[6:7], v[18:19] neg_lo:[0,1] neg_hi:[0,1]
	v_pk_add_f32 v[8:9], v[6:7], v[10:11] neg_lo:[0,1] neg_hi:[0,1]
	;; [unrolled: 1-line block ×3, first 2 shown]
	v_mov_b32_e32 v32, v28
	v_pk_fma_f32 v[0:1], v[0:1], 0.5, v[2:3] op_sel_hi:[1,0,1] neg_lo:[1,0,0] neg_hi:[1,0,0]
	v_pk_add_f32 v[8:9], v[8:9], v[12:13]
	v_pk_mul_f32 v[12:13], v[4:5], s[12:13] op_sel_hi:[1,0]
	v_pk_add_f32 v[30:31], v[30:31], v[16:17]
	v_pk_fma_f32 v[32:33], v[26:27], s[14:15], v[32:33] op_sel_hi:[1,0,1]
	v_pk_add_f32 v[16:17], v[0:1], v[12:13] op_sel:[0,1] op_sel_hi:[1,0]
	v_pk_add_f32 v[0:1], v[0:1], v[12:13] op_sel:[0,1] op_sel_hi:[1,0] neg_lo:[0,1] neg_hi:[0,1]
	v_pk_add_f32 v[12:13], v[10:11], v[14:15] neg_lo:[0,1] neg_hi:[0,1]
	ds_write2_b64 v65, v[30:31], v[32:33] offset1:1
	v_pk_mul_f32 v[20:21], v[12:13], s[2:3] op_sel_hi:[1,0]
	v_lshl_add_u64 v[32:33], v[66:67], 0, s[16:17]
	v_pk_add_f32 v[0:1], v[0:1], v[20:21] op_sel:[0,1] op_sel_hi:[1,0] neg_lo:[0,1] neg_hi:[0,1]
	v_pk_add_f32 v[16:17], v[16:17], v[20:21] op_sel:[0,1] op_sel_hi:[1,0]
	v_mul_u32_u24_e32 v20, 5, v32
	v_lshlrev_b32_e32 v79, 3, v20
	v_pk_add_f32 v[20:21], v[2:3], v[6:7]
	v_mov_b32_e32 v23, v1
	v_mov_b32_e32 v1, v17
	v_pk_add_f32 v[20:21], v[20:21], v[10:11]
	v_pk_add_f32 v[10:11], v[10:11], v[6:7] neg_lo:[0,1] neg_hi:[0,1]
	v_pk_add_f32 v[6:7], v[6:7], v[18:19]
	v_pk_mul_f32 v[4:5], v[4:5], s[2:3] op_sel_hi:[1,0]
	v_pk_fma_f32 v[0:1], v[8:9], s[14:15], v[0:1] op_sel_hi:[1,0,1]
	s_movk_i32 s3, 0xcd
	v_pk_fma_f32 v[2:3], v[6:7], 0.5, v[2:3] op_sel_hi:[1,0,1] neg_lo:[1,0,0] neg_hi:[1,0,0]
	v_pk_add_f32 v[6:7], v[14:15], v[18:19] neg_lo:[0,1] neg_hi:[0,1]
	ds_write_b64 v79, v[0:1] offset:32
	v_mul_lo_u16_sdwa v0, v66, s3 dst_sel:DWORD dst_unused:UNUSED_PAD src0_sel:BYTE_0 src1_sel:DWORD
	v_pk_add_f32 v[6:7], v[10:11], v[6:7]
	v_pk_mul_f32 v[10:11], v[12:13], s[12:13] op_sel_hi:[1,0]
	v_lshrrev_b16_e32 v33, 10, v0
	v_pk_add_f32 v[12:13], v[2:3], v[10:11] op_sel:[0,1] op_sel_hi:[1,0] neg_lo:[0,1] neg_hi:[0,1]
	v_pk_add_f32 v[2:3], v[2:3], v[10:11] op_sel:[0,1] op_sel_hi:[1,0]
	v_mul_lo_u16_e32 v0, 5, v33
	v_pk_add_f32 v[2:3], v[2:3], v[4:5] op_sel:[0,1] op_sel_hi:[1,0] neg_lo:[0,1] neg_hi:[0,1]
	v_pk_add_f32 v[4:5], v[12:13], v[4:5] op_sel:[0,1] op_sel_hi:[1,0]
	v_sub_u16_e32 v0, v66, v0
	v_pk_add_f32 v[20:21], v[20:21], v[14:15]
	v_mov_b32_e32 v22, v16
	v_mov_b32_e32 v10, v4
	;; [unrolled: 1-line block ×4, first 2 shown]
	v_and_b32_e32 v93, 0xff, v0
	s_movk_i32 s3, 0x48
	v_mov_b64_e32 v[16:17], s[10:11]
	v_pk_add_f32 v[20:21], v[20:21], v[18:19]
	v_pk_fma_f32 v[22:23], v[8:9], s[14:15], v[22:23] op_sel_hi:[1,0,1]
	v_pk_fma_f32 v[10:11], v[6:7], s[14:15], v[10:11] op_sel_hi:[1,0,1]
	;; [unrolled: 1-line block ×3, first 2 shown]
	v_mad_u64_u32 v[18:19], s[16:17], v93, s3, v[16:17]
	ds_write2_b64 v79, v[20:21], v[22:23] offset1:1
	ds_write2_b64 v79, v[10:11], v[2:3] offset0:2 offset1:3
	s_waitcnt lgkmcnt(0)
	s_barrier
	global_load_dwordx4 v[4:7], v[18:19], off
	global_load_dwordx4 v[0:3], v[18:19], off offset:16
	global_load_dwordx4 v[8:11], v[18:19], off offset:32
	;; [unrolled: 1-line block ×3, first 2 shown]
	global_load_dwordx2 v[90:91], v[18:19], off offset:64
	ds_read2_b64 v[18:21], v34 offset0:44 offset1:194
	s_mov_b32 s16, 0x3f4f1bbd
	s_waitcnt vmcnt(4)
	v_mov_b32_e32 v98, v7
	s_waitcnt lgkmcnt(0)
	v_pk_mul_f32 v[22:23], v[18:19], v[98:99] op_sel_hi:[1,0]
	s_waitcnt vmcnt(3)
	v_mov_b32_e32 v96, v3
	v_pk_fma_f32 v[26:27], v[18:19], v[6:7], v[22:23] op_sel:[0,0,1] op_sel_hi:[1,1,0] neg_lo:[0,0,1] neg_hi:[0,0,1]
	v_pk_fma_f32 v[28:29], v[18:19], v[6:7], v[22:23] op_sel:[0,0,1] op_sel_hi:[1,0,0]
	ds_read2_b64 v[22:25], v37 offset0:88 offset1:238
	v_pk_mul_f32 v[18:19], v[20:21], v[0:1] op_sel:[0,1]
	s_waitcnt vmcnt(2)
	v_mov_b32_e32 v94, v11
	v_pk_fma_f32 v[30:31], v[20:21], v[0:1], v[18:19] op_sel:[0,0,1] op_sel_hi:[1,1,0] neg_lo:[0,0,1] neg_hi:[0,0,1]
	v_pk_fma_f32 v[38:39], v[20:21], v[0:1], v[18:19] op_sel:[0,0,1] op_sel_hi:[1,0,0]
	s_waitcnt lgkmcnt(0)
	v_pk_mul_f32 v[18:19], v[22:23], v[96:97] op_sel_hi:[1,0]
	s_waitcnt vmcnt(1)
	v_mov_b32_e32 v92, v15
	v_pk_fma_f32 v[40:41], v[22:23], v[2:3], v[18:19] op_sel:[0,0,1] op_sel_hi:[1,1,0] neg_lo:[0,0,1] neg_hi:[0,0,1]
	v_pk_fma_f32 v[42:43], v[22:23], v[2:3], v[18:19] op_sel:[0,0,1] op_sel_hi:[1,0,0]
	ds_read2_b64 v[18:21], v35 offset0:4 offset1:154
	v_pk_mul_f32 v[22:23], v[24:25], v[8:9] op_sel:[0,1]
	v_mov_b32_e32 v27, v29
	v_pk_fma_f32 v[44:45], v[24:25], v[8:9], v[22:23] op_sel:[0,0,1] op_sel_hi:[1,1,0] neg_lo:[0,0,1] neg_hi:[0,0,1]
	v_pk_fma_f32 v[46:47], v[24:25], v[8:9], v[22:23] op_sel:[0,0,1] op_sel_hi:[1,0,0]
	s_waitcnt lgkmcnt(0)
	v_pk_mul_f32 v[22:23], v[18:19], v[94:95] op_sel_hi:[1,0]
	v_mov_b32_e32 v41, v43
	v_pk_fma_f32 v[48:49], v[18:19], v[10:11], v[22:23] op_sel:[0,0,1] op_sel_hi:[1,1,0] neg_lo:[0,0,1] neg_hi:[0,0,1]
	v_pk_fma_f32 v[50:51], v[18:19], v[10:11], v[22:23] op_sel:[0,0,1] op_sel_hi:[1,0,0]
	ds_read2_b64 v[22:25], v36 offset0:48 offset1:198
	v_pk_mul_f32 v[18:19], v[20:21], v[12:13] op_sel:[0,1]
	v_mov_b32_e32 v49, v51
	v_pk_fma_f32 v[52:53], v[20:21], v[12:13], v[18:19] op_sel:[0,0,1] op_sel_hi:[1,1,0] neg_lo:[0,0,1] neg_hi:[0,0,1]
	v_pk_fma_f32 v[54:55], v[20:21], v[12:13], v[18:19] op_sel:[0,0,1] op_sel_hi:[1,0,0]
	ds_read2_b64 v[18:21], v64 offset1:150
	s_waitcnt lgkmcnt(1)
	v_pk_mul_f32 v[56:57], v[22:23], v[92:93] op_sel_hi:[1,0]
	v_mov_b32_e32 v31, v39
	v_pk_fma_f32 v[58:59], v[22:23], v[14:15], v[56:57] op_sel:[0,0,1] op_sel_hi:[1,1,0] neg_lo:[0,0,1] neg_hi:[0,0,1]
	v_pk_fma_f32 v[22:23], v[22:23], v[14:15], v[56:57] op_sel:[0,0,1] op_sel_hi:[1,0,0]
	s_waitcnt vmcnt(0)
	v_pk_mul_f32 v[56:57], v[24:25], v[90:91] op_sel:[0,1]
	v_mov_b32_e32 v59, v23
	v_pk_fma_f32 v[60:61], v[24:25], v[90:91], v[56:57] op_sel:[0,0,1] op_sel_hi:[1,1,0] neg_lo:[0,0,1] neg_hi:[0,0,1]
	v_pk_fma_f32 v[24:25], v[24:25], v[90:91], v[56:57] op_sel:[0,0,1] op_sel_hi:[1,0,0]
	s_waitcnt lgkmcnt(0)
	v_pk_mul_f32 v[56:57], v[20:21], v[4:5] op_sel:[0,1]
	v_pk_add_f32 v[22:23], v[58:59], v[48:49] neg_lo:[0,1] neg_hi:[0,1]
	v_pk_fma_f32 v[62:63], v[20:21], v[4:5], v[56:57] op_sel:[0,0,1] op_sel_hi:[1,1,0] neg_lo:[0,0,1] neg_hi:[0,0,1]
	v_pk_fma_f32 v[20:21], v[20:21], v[4:5], v[56:57] op_sel:[0,0,1] op_sel_hi:[1,0,0]
	v_mov_b32_e32 v61, v25
	v_mov_b32_e32 v63, v21
	v_pk_add_f32 v[20:21], v[26:27], v[40:41] neg_lo:[0,1] neg_hi:[0,1]
	v_pk_add_f32 v[24:25], v[26:27], v[58:59] neg_lo:[0,1] neg_hi:[0,1]
	v_pk_add_f32 v[20:21], v[20:21], v[22:23]
	v_pk_add_f32 v[22:23], v[40:41], v[48:49]
	v_pk_mul_f32 v[28:29], v[24:25], s[12:13] op_sel_hi:[1,0]
	v_pk_fma_f32 v[22:23], v[22:23], 0.5, v[18:19] op_sel_hi:[1,0,1] neg_lo:[1,0,0] neg_hi:[1,0,0]
	v_mov_b32_e32 v45, v47
	v_pk_add_f32 v[38:39], v[22:23], v[28:29] op_sel:[0,1] op_sel_hi:[1,0]
	v_pk_add_f32 v[22:23], v[22:23], v[28:29] op_sel:[0,1] op_sel_hi:[1,0] neg_lo:[0,1] neg_hi:[0,1]
	v_pk_add_f32 v[28:29], v[40:41], v[48:49] neg_lo:[0,1] neg_hi:[0,1]
	v_mov_b32_e32 v53, v55
	v_pk_mul_f32 v[42:43], v[28:29], s[2:3] op_sel_hi:[1,0]
	v_pk_add_f32 v[46:47], v[60:61], v[52:53] neg_lo:[0,1] neg_hi:[0,1]
	v_pk_add_f32 v[22:23], v[22:23], v[42:43] op_sel:[0,1] op_sel_hi:[1,0] neg_lo:[0,1] neg_hi:[0,1]
	v_pk_add_f32 v[38:39], v[38:39], v[42:43] op_sel:[0,1] op_sel_hi:[1,0]
	v_pk_add_f32 v[42:43], v[30:31], v[44:45] neg_lo:[0,1] neg_hi:[0,1]
	v_pk_add_f32 v[50:51], v[30:31], v[60:61] neg_lo:[0,1] neg_hi:[0,1]
	v_pk_add_f32 v[42:43], v[42:43], v[46:47]
	v_pk_add_f32 v[46:47], v[44:45], v[52:53]
	v_pk_mul_f32 v[54:55], v[50:51], s[12:13] op_sel_hi:[1,0]
	v_pk_fma_f32 v[46:47], v[46:47], 0.5, v[62:63] op_sel_hi:[1,0,1] neg_lo:[1,0,0] neg_hi:[1,0,0]
	v_mov_b32_e32 v106, v38
	v_pk_add_f32 v[56:57], v[46:47], v[54:55] op_sel:[0,1] op_sel_hi:[1,0]
	v_pk_add_f32 v[46:47], v[46:47], v[54:55] op_sel:[0,1] op_sel_hi:[1,0] neg_lo:[0,1] neg_hi:[0,1]
	v_pk_add_f32 v[54:55], v[44:45], v[52:53] neg_lo:[0,1] neg_hi:[0,1]
	v_mov_b32_e32 v107, v23
	v_pk_mul_f32 v[100:101], v[54:55], s[2:3] op_sel_hi:[1,0]
	v_mul_u32_u24_e32 v3, 50, v33
	v_pk_add_f32 v[46:47], v[46:47], v[100:101] op_sel:[0,1] op_sel_hi:[1,0] neg_lo:[0,1] neg_hi:[0,1]
	v_pk_add_f32 v[56:57], v[56:57], v[100:101] op_sel:[0,1] op_sel_hi:[1,0]
	v_mov_b32_e32 v101, v47
	v_mov_b32_e32 v100, v56
	v_pk_fma_f32 v[100:101], v[42:43], s[14:15], v[100:101] op_sel_hi:[1,0,1]
	v_pk_fma_f32 v[106:107], v[20:21], s[14:15], v[106:107] op_sel_hi:[1,0,1]
	v_pk_mul_f32 v[102:103], v[100:101], s[2:3] op_sel_hi:[1,0]
	v_add_lshl_u32 v137, v3, v93, 3
	v_pk_fma_f32 v[104:105], v[100:101], s[16:17], v[102:103] op_sel:[0,0,1] op_sel_hi:[1,0,0]
	v_pk_fma_f32 v[100:101], v[100:101], s[16:17], v[102:103] op_sel:[0,0,1] op_sel_hi:[1,0,0] neg_lo:[0,0,1] neg_hi:[0,0,1]
	v_pk_add_f32 v[102:103], v[62:63], v[30:31]
	v_mov_b32_e32 v105, v101
	v_pk_add_f32 v[100:101], v[18:19], v[26:27]
	v_pk_add_f32 v[102:103], v[102:103], v[44:45]
	;; [unrolled: 1-line block ×9, first 2 shown]
	s_barrier
	ds_write2_b64 v137, v[108:109], v[110:111] offset1:5
	v_pk_add_f32 v[108:109], v[26:27], v[58:59]
	v_pk_add_f32 v[26:27], v[40:41], v[26:27] neg_lo:[0,1] neg_hi:[0,1]
	v_pk_add_f32 v[40:41], v[48:49], v[58:59] neg_lo:[0,1] neg_hi:[0,1]
	v_pk_fma_f32 v[18:19], v[108:109], 0.5, v[18:19] op_sel_hi:[1,0,1] neg_lo:[1,0,0] neg_hi:[1,0,0]
	v_pk_add_f32 v[26:27], v[26:27], v[40:41]
	v_pk_add_f32 v[40:41], v[30:31], v[60:61]
	v_pk_add_f32 v[30:31], v[44:45], v[30:31] neg_lo:[0,1] neg_hi:[0,1]
	v_pk_add_f32 v[44:45], v[52:53], v[60:61] neg_lo:[0,1] neg_hi:[0,1]
	v_pk_mul_f32 v[28:29], v[28:29], s[12:13] op_sel_hi:[1,0]
	v_pk_fma_f32 v[40:41], v[40:41], 0.5, v[62:63] op_sel_hi:[1,0,1] neg_lo:[1,0,0] neg_hi:[1,0,0]
	v_pk_add_f32 v[30:31], v[30:31], v[44:45]
	v_pk_add_f32 v[44:45], v[18:19], v[28:29] op_sel:[0,1] op_sel_hi:[1,0] neg_lo:[0,1] neg_hi:[0,1]
	v_pk_add_f32 v[18:19], v[18:19], v[28:29] op_sel:[0,1] op_sel_hi:[1,0]
	v_pk_mul_f32 v[24:25], v[24:25], s[2:3] op_sel_hi:[1,0]
	v_pk_mul_f32 v[28:29], v[54:55], s[12:13] op_sel_hi:[1,0]
	v_pk_add_f32 v[18:19], v[18:19], v[24:25] op_sel:[0,1] op_sel_hi:[1,0] neg_lo:[0,1] neg_hi:[0,1]
	v_pk_add_f32 v[24:25], v[44:45], v[24:25] op_sel:[0,1] op_sel_hi:[1,0]
	v_pk_add_f32 v[44:45], v[40:41], v[28:29] op_sel:[0,1] op_sel_hi:[1,0] neg_lo:[0,1] neg_hi:[0,1]
	v_pk_add_f32 v[28:29], v[40:41], v[28:29] op_sel:[0,1] op_sel_hi:[1,0]
	v_pk_mul_f32 v[40:41], v[50:51], s[2:3] op_sel_hi:[1,0]
	v_mov_b32_e32 v3, 41
	v_pk_add_f32 v[28:29], v[28:29], v[40:41] op_sel:[0,1] op_sel_hi:[1,0] neg_lo:[0,1] neg_hi:[0,1]
	v_pk_add_f32 v[40:41], v[44:45], v[40:41] op_sel:[0,1] op_sel_hi:[1,0]
	v_mov_b32_e32 v45, v29
	v_mov_b32_e32 v44, v40
	v_pk_fma_f32 v[44:45], v[30:31], s[14:15], v[44:45] op_sel_hi:[1,0,1]
	v_mov_b32_e32 v29, v41
	v_pk_mul_f32 v[48:49], v[44:45], s[12:13] op_sel_hi:[1,0]
	v_mov_b32_e32 v23, v39
	v_pk_fma_f32 v[50:51], v[44:45], s[14:15], v[48:49] op_sel:[0,0,1] op_sel_hi:[1,0,0]
	v_pk_fma_f32 v[44:45], v[44:45], s[14:15], v[48:49] op_sel:[0,0,1] op_sel_hi:[1,0,0] neg_lo:[0,0,1] neg_hi:[0,0,1]
	v_mov_b32_e32 v47, v57
	v_mov_b32_e32 v51, v45
	;; [unrolled: 1-line block ×5, first 2 shown]
	v_pk_fma_f32 v[24:25], v[26:27], s[14:15], v[44:45] op_sel_hi:[1,0,1]
	v_pk_fma_f32 v[18:19], v[26:27], s[14:15], v[18:19] op_sel_hi:[1,0,1]
	;; [unrolled: 1-line block ×3, first 2 shown]
	v_mul_lo_u16_sdwa v3, v66, v3 dst_sel:DWORD dst_unused:UNUSED_PAD src0_sel:BYTE_0 src1_sel:DWORD
	v_pk_mul_f32 v[28:29], v[26:27], s[14:15] op_sel_hi:[1,0]
	v_pk_fma_f32 v[20:21], v[20:21], s[14:15], v[22:23] op_sel_hi:[1,0,1]
	v_pk_fma_f32 v[26:27], v[26:27], s[18:19], v[28:29] op_sel:[0,0,1] op_sel_hi:[1,1,0] neg_lo:[0,0,1] neg_hi:[0,0,1]
	v_pk_add_f32 v[28:29], v[24:25], v[50:51]
	v_pk_add_f32 v[30:31], v[18:19], v[26:27] op_sel:[0,1] op_sel_hi:[1,0]
	v_pk_fma_f32 v[22:23], v[42:43], s[14:15], v[46:47] op_sel_hi:[1,0,1]
	v_lshrrev_b16_e32 v3, 11, v3
	ds_write2_b64 v137, v[28:29], v[30:31] offset0:10 offset1:15
	v_pk_mul_f32 v[28:29], v[22:23], s[16:17] op_sel_hi:[1,0]
	v_mul_lo_u16_e32 v7, 50, v3
	v_pk_fma_f32 v[22:23], v[22:23], s[20:21], v[28:29] op_sel:[0,0,1] op_sel_hi:[1,1,0] neg_lo:[0,0,1] neg_hi:[0,0,1]
	v_sub_u16_e32 v7, v66, v7
	v_pk_add_f32 v[28:29], v[100:101], v[102:103] neg_lo:[0,1] neg_hi:[0,1]
	v_pk_add_f32 v[30:31], v[20:21], v[22:23] op_sel:[0,1] op_sel_hi:[1,0]
	v_and_b32_e32 v7, 0xff, v7
	ds_write2_b64 v137, v[30:31], v[28:29] offset0:20 offset1:25
	v_pk_add_f32 v[28:29], v[106:107], v[104:105] neg_lo:[0,1] neg_hi:[0,1]
	v_pk_add_f32 v[24:25], v[24:25], v[50:51] neg_lo:[0,1] neg_hi:[0,1]
	v_pk_add_f32 v[18:19], v[18:19], v[26:27] op_sel:[0,1] op_sel_hi:[1,0] neg_lo:[0,1] neg_hi:[0,1]
	v_pk_add_f32 v[20:21], v[20:21], v[22:23] op_sel:[0,1] op_sel_hi:[1,0] neg_lo:[0,1] neg_hi:[0,1]
	v_mad_u64_u32 v[38:39], s[22:23], v7, s3, v[16:17]
	ds_write2_b64 v137, v[28:29], v[24:25] offset0:30 offset1:35
	ds_write2_b64 v137, v[18:19], v[20:21] offset0:40 offset1:45
	s_waitcnt lgkmcnt(0)
	s_barrier
	global_load_dwordx4 v[16:19], v[38:39], off offset:360
	global_load_dwordx4 v[20:23], v[38:39], off offset:376
	;; [unrolled: 1-line block ×4, first 2 shown]
	global_load_dwordx2 v[100:101], v[38:39], off offset:424
	ds_read2_b64 v[38:41], v34 offset0:44 offset1:194
	v_mul_u32_u24_e32 v3, 0x1f4, v3
	v_add_lshl_u32 v139, v3, v7, 3
	v_add_u32_e32 v3, 0x800, v139
	s_waitcnt vmcnt(4)
	v_mov_b32_e32 v102, v19
	s_waitcnt lgkmcnt(0)
	v_pk_mul_f32 v[42:43], v[38:39], v[102:103] op_sel_hi:[1,0]
	s_waitcnt vmcnt(3)
	v_mov_b32_e32 v104, v23
	v_pk_fma_f32 v[46:47], v[38:39], v[18:19], v[42:43] op_sel:[0,0,1] op_sel_hi:[1,1,0] neg_lo:[0,0,1] neg_hi:[0,0,1]
	v_pk_fma_f32 v[48:49], v[38:39], v[18:19], v[42:43] op_sel:[0,0,1] op_sel_hi:[1,0,0]
	ds_read2_b64 v[42:45], v37 offset0:88 offset1:238
	v_pk_mul_f32 v[38:39], v[40:41], v[20:21] op_sel:[0,1]
	s_waitcnt vmcnt(2)
	v_mov_b32_e32 v106, v27
	v_pk_fma_f32 v[50:51], v[40:41], v[20:21], v[38:39] op_sel:[0,0,1] op_sel_hi:[1,1,0] neg_lo:[0,0,1] neg_hi:[0,0,1]
	v_pk_fma_f32 v[52:53], v[40:41], v[20:21], v[38:39] op_sel:[0,0,1] op_sel_hi:[1,0,0]
	s_waitcnt lgkmcnt(0)
	v_pk_mul_f32 v[38:39], v[42:43], v[104:105] op_sel_hi:[1,0]
	v_pk_mul_f32 v[56:57], v[44:45], v[24:25] op_sel:[0,1]
	v_pk_fma_f32 v[54:55], v[42:43], v[22:23], v[38:39] op_sel:[0,0,1] op_sel_hi:[1,1,0] neg_lo:[0,0,1] neg_hi:[0,0,1]
	v_pk_fma_f32 v[42:43], v[42:43], v[22:23], v[38:39] op_sel:[0,0,1] op_sel_hi:[1,0,0]
	ds_read2_b64 v[38:41], v35 offset0:4 offset1:154
	v_pk_fma_f32 v[58:59], v[44:45], v[24:25], v[56:57] op_sel:[0,0,1] op_sel_hi:[1,1,0] neg_lo:[0,0,1] neg_hi:[0,0,1]
	v_pk_fma_f32 v[44:45], v[44:45], v[24:25], v[56:57] op_sel:[0,0,1] op_sel_hi:[1,0,0]
	s_waitcnt vmcnt(1)
	v_mov_b32_e32 v108, v31
	v_mov_b32_e32 v47, v49
	s_waitcnt lgkmcnt(0)
	v_pk_mul_f32 v[56:57], v[38:39], v[106:107] op_sel_hi:[1,0]
	v_pk_mul_f32 v[62:63], v[40:41], v[28:29] op_sel:[0,1]
	v_pk_fma_f32 v[60:61], v[38:39], v[26:27], v[56:57] op_sel:[0,0,1] op_sel_hi:[1,1,0] neg_lo:[0,0,1] neg_hi:[0,0,1]
	v_pk_fma_f32 v[56:57], v[38:39], v[26:27], v[56:57] op_sel:[0,0,1] op_sel_hi:[1,0,0]
	ds_read2_b64 v[36:39], v36 offset0:48 offset1:198
	v_pk_fma_f32 v[110:111], v[40:41], v[28:29], v[62:63] op_sel:[0,0,1] op_sel_hi:[1,1,0] neg_lo:[0,0,1] neg_hi:[0,0,1]
	v_pk_fma_f32 v[40:41], v[40:41], v[28:29], v[62:63] op_sel:[0,0,1] op_sel_hi:[1,0,0]
	v_mov_b32_e32 v55, v43
	v_mov_b32_e32 v61, v57
	s_waitcnt lgkmcnt(0)
	v_pk_mul_f32 v[62:63], v[36:37], v[108:109] op_sel_hi:[1,0]
	v_pk_add_f32 v[42:43], v[46:47], v[54:55] neg_lo:[0,1] neg_hi:[0,1]
	v_pk_fma_f32 v[112:113], v[36:37], v[30:31], v[62:63] op_sel:[0,0,1] op_sel_hi:[1,1,0] neg_lo:[0,0,1] neg_hi:[0,0,1]
	v_pk_fma_f32 v[62:63], v[36:37], v[30:31], v[62:63] op_sel:[0,0,1] op_sel_hi:[1,0,0]
	s_waitcnt vmcnt(0)
	v_pk_mul_f32 v[36:37], v[38:39], v[100:101] op_sel:[0,1]
	v_mov_b32_e32 v113, v63
	v_pk_fma_f32 v[114:115], v[38:39], v[100:101], v[36:37] op_sel:[0,0,1] op_sel_hi:[1,1,0] neg_lo:[0,0,1] neg_hi:[0,0,1]
	v_pk_fma_f32 v[116:117], v[38:39], v[100:101], v[36:37] op_sel:[0,0,1] op_sel_hi:[1,0,0]
	ds_read2_b64 v[36:39], v64 offset1:150
	v_pk_add_f32 v[48:49], v[112:113], v[60:61] neg_lo:[0,1] neg_hi:[0,1]
	v_mov_b32_e32 v59, v45
	v_pk_add_f32 v[42:43], v[42:43], v[48:49]
	v_mov_b32_e32 v111, v41
	s_waitcnt lgkmcnt(0)
	v_pk_mul_f32 v[48:49], v[38:39], v[16:17] op_sel:[0,1]
	v_mov_b32_e32 v51, v53
	v_pk_fma_f32 v[56:57], v[38:39], v[16:17], v[48:49] op_sel:[0,0,1] op_sel_hi:[1,1,0] neg_lo:[0,0,1] neg_hi:[0,0,1]
	v_pk_fma_f32 v[38:39], v[38:39], v[16:17], v[48:49] op_sel:[0,0,1] op_sel_hi:[1,0,0]
	v_mov_b32_e32 v115, v117
	v_mov_b32_e32 v57, v39
	v_pk_add_f32 v[62:63], v[58:59], v[110:111]
	v_pk_add_f32 v[38:39], v[50:51], v[58:59] neg_lo:[0,1] neg_hi:[0,1]
	v_pk_add_f32 v[40:41], v[114:115], v[110:111] neg_lo:[0,1] neg_hi:[0,1]
	v_pk_fma_f32 v[62:63], v[62:63], 0.5, v[56:57] op_sel_hi:[1,0,1] neg_lo:[1,0,0] neg_hi:[1,0,0]
	v_pk_add_f32 v[116:117], v[50:51], v[114:115] neg_lo:[0,1] neg_hi:[0,1]
	v_pk_add_f32 v[38:39], v[38:39], v[40:41]
	v_pk_add_f32 v[40:41], v[54:55], v[60:61]
	v_pk_fma_f32 v[118:119], v[116:117], s[12:13], v[62:63] op_sel:[0,0,1] op_sel_hi:[1,0,0]
	v_pk_fma_f32 v[62:63], v[116:117], s[12:13], v[62:63] op_sel:[0,0,1] op_sel_hi:[1,0,0] neg_lo:[1,0,0] neg_hi:[1,0,0]
	v_pk_add_f32 v[120:121], v[58:59], v[110:111] neg_lo:[0,1] neg_hi:[0,1]
	v_pk_fma_f32 v[40:41], v[40:41], 0.5, v[36:37] op_sel_hi:[1,0,1] neg_lo:[1,0,0] neg_hi:[1,0,0]
	v_pk_add_f32 v[44:45], v[46:47], v[112:113] neg_lo:[0,1] neg_hi:[0,1]
	v_pk_fma_f32 v[62:63], v[120:121], s[2:3], v[62:63] op_sel_hi:[1,0,1] neg_lo:[1,0,0] neg_hi:[1,0,0]
	v_pk_fma_f32 v[118:119], v[120:121], s[2:3], v[118:119] op_sel_hi:[1,0,1]
	v_pk_fma_f32 v[48:49], v[44:45], s[12:13], v[40:41] op_sel:[1,0,0] op_sel_hi:[0,0,1] neg_lo:[1,0,0] neg_hi:[1,0,0]
	v_pk_fma_f32 v[40:41], v[44:45], s[12:13], v[40:41] op_sel:[1,0,0] op_sel_hi:[0,0,1]
	v_pk_add_f32 v[52:53], v[54:55], v[60:61] neg_lo:[0,1] neg_hi:[0,1]
	v_pk_mul_f32 v[38:39], v[38:39], s[14:15] op_sel_hi:[1,0]
	v_mov_b32_e32 v123, v63
	v_mov_b32_e32 v63, v119
	v_pk_fma_f32 v[40:41], v[52:53], s[2:3], v[40:41] op_sel:[1,0,0] op_sel_hi:[0,0,1]
	v_pk_fma_f32 v[48:49], v[52:53], s[2:3], v[48:49] op_sel:[1,0,0] op_sel_hi:[0,0,1] neg_lo:[1,0,0] neg_hi:[1,0,0]
	s_mov_b32 s3, s20
	v_pk_add_f32 v[62:63], v[38:39], v[62:63] op_sel:[1,0] op_sel_hi:[0,1]
	v_pk_mul_f32 v[124:125], v[62:63], s[2:3] op_sel_hi:[1,0]
	v_mov_b32_e32 v129, v41
	v_pk_fma_f32 v[126:127], v[62:63], s[16:17], v[124:125] op_sel:[0,0,1] op_sel_hi:[1,0,0]
	v_pk_fma_f32 v[62:63], v[62:63], s[16:17], v[124:125] op_sel:[0,0,1] op_sel_hi:[1,0,0] neg_lo:[0,0,1] neg_hi:[0,0,1]
	v_mov_b32_e32 v124, v127
	v_mov_b32_e32 v125, v62
	v_pk_add_f32 v[62:63], v[56:57], v[50:51]
	v_pk_add_f32 v[126:127], v[36:37], v[46:47]
	;; [unrolled: 1-line block ×6, first 2 shown]
	v_mov_b32_e32 v41, v49
	v_pk_add_f32 v[62:63], v[62:63], v[114:115]
	v_pk_add_f32 v[126:127], v[126:127], v[112:113]
	v_pk_fma_f32 v[40:41], v[42:43], s[14:15], v[40:41] op_sel_hi:[1,0,1]
	v_pk_add_f32 v[130:131], v[126:127], v[62:63]
	v_pk_add_f32 v[132:133], v[40:41], v[124:125]
	s_barrier
	ds_write2_b64 v139, v[130:131], v[132:133] offset1:50
	v_pk_add_f32 v[130:131], v[46:47], v[112:113]
	v_pk_add_f32 v[46:47], v[54:55], v[46:47] neg_lo:[0,1] neg_hi:[0,1]
	v_pk_fma_f32 v[36:37], v[130:131], 0.5, v[36:37] op_sel_hi:[1,0,1] neg_lo:[1,0,0] neg_hi:[1,0,0]
	v_pk_add_f32 v[54:55], v[60:61], v[112:113] neg_lo:[0,1] neg_hi:[0,1]
	v_mov_b32_e32 v122, v118
	v_pk_add_f32 v[46:47], v[46:47], v[54:55]
	v_pk_fma_f32 v[54:55], v[52:53], s[12:13], v[36:37] op_sel:[1,0,0] op_sel_hi:[0,0,1] neg_lo:[1,0,0] neg_hi:[1,0,0]
	v_pk_fma_f32 v[36:37], v[52:53], s[12:13], v[36:37] op_sel:[1,0,0] op_sel_hi:[0,0,1]
	v_pk_fma_f32 v[36:37], v[44:45], s[2:3], v[36:37] op_sel:[1,0,0] op_sel_hi:[0,0,1] neg_lo:[1,0,0] neg_hi:[1,0,0]
	v_pk_fma_f32 v[44:45], v[44:45], s[2:3], v[54:55] op_sel:[1,0,0] op_sel_hi:[0,0,1]
	v_pk_add_f32 v[52:53], v[50:51], v[114:115]
	v_pk_add_f32 v[50:51], v[58:59], v[50:51] neg_lo:[0,1] neg_hi:[0,1]
	v_pk_add_f32 v[54:55], v[110:111], v[114:115] neg_lo:[0,1] neg_hi:[0,1]
	v_pk_fma_f32 v[52:53], v[52:53], 0.5, v[56:57] op_sel_hi:[1,0,1] neg_lo:[1,0,0] neg_hi:[1,0,0]
	v_pk_add_f32 v[50:51], v[50:51], v[54:55]
	v_pk_mul_f32 v[54:55], v[120:121], s[12:13] op_sel_hi:[1,0]
	v_pk_add_f32 v[38:39], v[38:39], v[122:123] op_sel:[1,0] op_sel_hi:[0,1]
	v_pk_add_f32 v[56:57], v[52:53], v[54:55] op_sel:[0,1] op_sel_hi:[1,0] neg_lo:[0,1] neg_hi:[0,1]
	v_pk_add_f32 v[52:53], v[52:53], v[54:55] op_sel:[0,1] op_sel_hi:[1,0]
	v_pk_mul_f32 v[54:55], v[116:117], s[2:3] op_sel_hi:[1,0]
	v_mov_b32_e32 v128, v48
	v_pk_add_f32 v[52:53], v[52:53], v[54:55] op_sel:[0,1] op_sel_hi:[1,0] neg_lo:[0,1] neg_hi:[0,1]
	v_pk_add_f32 v[54:55], v[56:57], v[54:55] op_sel:[0,1] op_sel_hi:[1,0]
	v_mov_b32_e32 v57, v53
	v_mov_b32_e32 v56, v54
	v_pk_fma_f32 v[56:57], v[50:51], s[14:15], v[56:57] op_sel_hi:[1,0,1]
	v_mov_b32_e32 v53, v55
	v_pk_mul_f32 v[58:59], v[56:57], s[12:13] op_sel_hi:[1,0]
	v_pk_mul_f32 v[48:49], v[38:39], s[16:17] op_sel_hi:[1,0]
	v_pk_fma_f32 v[60:61], v[56:57], s[14:15], v[58:59] op_sel:[0,0,1] op_sel_hi:[1,0,0]
	v_pk_fma_f32 v[56:57], v[56:57], s[14:15], v[58:59] op_sel:[0,0,1] op_sel_hi:[1,0,0] neg_lo:[0,0,1] neg_hi:[0,0,1]
	v_pk_fma_f32 v[42:43], v[42:43], s[14:15], v[128:129] op_sel_hi:[1,0,1]
	v_mov_b32_e32 v61, v57
	v_mov_b32_e32 v56, v44
	;; [unrolled: 1-line block ×4, first 2 shown]
	v_pk_fma_f32 v[44:45], v[46:47], s[14:15], v[56:57] op_sel_hi:[1,0,1]
	v_pk_fma_f32 v[36:37], v[46:47], s[14:15], v[36:37] op_sel_hi:[1,0,1]
	;; [unrolled: 1-line block ×3, first 2 shown]
	v_pk_fma_f32 v[38:39], v[38:39], s[2:3], v[48:49] op_sel:[0,0,1] op_sel_hi:[1,1,0] neg_lo:[0,0,1] neg_hi:[0,0,1]
	v_pk_mul_f32 v[50:51], v[46:47], s[14:15] op_sel_hi:[1,0]
	v_pk_add_f32 v[48:49], v[126:127], v[62:63] neg_lo:[0,1] neg_hi:[0,1]
	v_pk_fma_f32 v[46:47], v[46:47], s[18:19], v[50:51] op_sel:[0,0,1] op_sel_hi:[1,1,0] neg_lo:[0,0,1] neg_hi:[0,0,1]
	v_pk_add_f32 v[50:51], v[44:45], v[60:61]
	v_pk_add_f32 v[52:53], v[36:37], v[46:47] op_sel:[0,1] op_sel_hi:[1,0]
	ds_write2_b64 v139, v[50:51], v[52:53] offset0:100 offset1:150
	v_pk_add_f32 v[50:51], v[42:43], v[38:39]
	v_pk_add_f32 v[40:41], v[40:41], v[124:125] neg_lo:[0,1] neg_hi:[0,1]
	v_pk_add_f32 v[44:45], v[44:45], v[60:61] neg_lo:[0,1] neg_hi:[0,1]
	;; [unrolled: 1-line block ×3, first 2 shown]
	v_pk_add_f32 v[36:37], v[36:37], v[46:47] op_sel:[0,1] op_sel_hi:[1,0] neg_lo:[0,1] neg_hi:[0,1]
	ds_write2_b64 v139, v[50:51], v[48:49] offset0:200 offset1:250
	ds_write2_b64 v3, v[40:41], v[44:45] offset0:44 offset1:94
	;; [unrolled: 1-line block ×3, first 2 shown]
	s_waitcnt lgkmcnt(0)
	s_barrier
	ds_read_b64 v[132:133], v64 offset:10400
	ds_read2_b64 v[48:51], v34 offset0:44 offset1:244
	ds_read2_b64 v[60:63], v35 offset0:104 offset1:254
	ds_read2_b64 v[56:59], v64 offset1:150
	ds_read2_b64 v[52:55], v142 offset0:10 offset1:160
	s_load_dwordx2 s[12:13], s[0:1], 0x38
	v_cmp_lt_u16_e64 s[2:3], 49, v66
	v_cmp_gt_u16_e64 s[0:1], 50, v66
	v_mov_b32_e32 v118, v13
	v_mov_b32_e32 v120, v9
	;; [unrolled: 1-line block ×8, first 2 shown]
	s_and_saveexec_b64 s[14:15], s[0:1]
	s_cbranch_execz .LBB0_3
; %bb.2:
	ds_read_b64 v[140:141], v64 offset:7600
	ds_read_b64 v[134:135], v64 offset:11600
	;; [unrolled: 1-line block ×3, first 2 shown]
	s_waitcnt lgkmcnt(0)
	v_mov_b32_e32 v136, v141
	v_mov_b32_e32 v138, v135
.LBB0_3:
	s_or_b64 exec, exec, s[14:15]
	v_lshlrev_b32_e32 v17, 4, v66
	s_movk_i32 s16, 0xffce
	global_load_dwordx4 v[36:39], v17, s[10:11] offset:3960
	v_lshlrev_b32_e32 v1, 4, v32
	global_load_dwordx4 v[40:43], v1, s[10:11] offset:3960
	s_mov_b64 s[14:15], 0x1c2
	s_mov_b32 s17, -1
	v_lshl_add_u64 v[32:33], v[66:67], 0, s[14:15]
	v_lshl_add_u64 v[34:35], v[66:67], 0, s[16:17]
	v_cndmask_b32_e64 v33, v35, v33, s[0:1]
	v_cndmask_b32_e64 v32, v34, v32, s[0:1]
	v_lshl_add_u64 v[32:33], v[32:33], 4, s[10:11]
	global_load_dwordx4 v[32:35], v[32:33], off offset:3960
	v_add_u32_e32 v17, 0x12c0, v17
	global_load_dwordx4 v[44:47], v17, s[10:11] offset:3960
	s_mov_b32 s14, 0x3f5db3d7
	v_mov_b32_e32 v5, v4
	v_mov_b32_e32 v125, v124
	;; [unrolled: 1-line block ×38, first 2 shown]
	s_waitcnt vmcnt(3)
	v_mov_b32_e32 v146, v39
	s_waitcnt lgkmcnt(0)
	v_pk_mul_f32 v[144:145], v[50:51], v[36:37] op_sel:[0,1]
	s_waitcnt vmcnt(2)
	v_mov_b32_e32 v148, v43
	v_pk_mul_f32 v[150:151], v[52:53], v[40:41] op_sel:[0,1]
	v_pk_mul_f32 v[146:147], v[60:61], v[146:147] op_sel_hi:[1,0]
	v_pk_mul_f32 v[148:149], v[62:63], v[148:149] op_sel_hi:[1,0]
	v_pk_fma_f32 v[152:153], v[50:51], v[36:37], v[144:145] op_sel:[0,0,1] op_sel_hi:[1,1,0] neg_lo:[0,0,1] neg_hi:[0,0,1]
	v_pk_fma_f32 v[50:51], v[50:51], v[36:37], v[144:145] op_sel:[0,0,1] op_sel_hi:[1,0,0]
	v_pk_fma_f32 v[144:145], v[52:53], v[40:41], v[150:151] op_sel:[0,0,1] op_sel_hi:[1,1,0] neg_lo:[0,0,1] neg_hi:[0,0,1]
	v_pk_fma_f32 v[52:53], v[52:53], v[40:41], v[150:151] op_sel:[0,0,1] op_sel_hi:[1,0,0]
	;; [unrolled: 2-line block ×4, first 2 shown]
	v_mov_b32_e32 v153, v51
	v_mov_b32_e32 v151, v61
	;; [unrolled: 1-line block ×3, first 2 shown]
	s_waitcnt vmcnt(1)
	v_pk_mul_f32 v[60:61], v[140:141], v[32:33] op_sel_hi:[0,1]
	v_pk_add_f32 v[62:63], v[152:153], v[150:151]
	v_pk_add_f32 v[140:141], v[152:153], v[150:151] neg_lo:[0,1] neg_hi:[0,1]
	v_pk_add_f32 v[50:51], v[56:57], v[152:153]
	v_pk_fma_f32 v[56:57], v[62:63], 0.5, v[56:57] op_sel_hi:[1,0,1] neg_lo:[1,0,0] neg_hi:[1,0,0]
	v_pk_mul_f32 v[62:63], v[140:141], s[14:15] op_sel_hi:[1,0]
	v_mov_b32_e32 v145, v53
	v_pk_add_f32 v[140:141], v[56:57], v[62:63] op_sel:[0,1] op_sel_hi:[1,0]
	v_pk_add_f32 v[56:57], v[56:57], v[62:63] op_sel:[0,1] op_sel_hi:[1,0] neg_lo:[0,1] neg_hi:[0,1]
	v_pk_add_f32 v[52:53], v[58:59], v[144:145]
	v_mov_b32_e32 v62, v140
	v_mov_b32_e32 v63, v57
	;; [unrolled: 1-line block ×3, first 2 shown]
	v_pk_add_f32 v[50:51], v[50:51], v[150:151]
	v_pk_add_f32 v[52:53], v[52:53], v[146:147]
	ds_write_b64 v64, v[62:63] offset:4000
	ds_write_b64 v64, v[56:57] offset:8000
	ds_write2_b64 v64, v[50:51], v[52:53] offset1:150
	v_pk_mul_f32 v[56:57], v[134:135], v[34:35] op_sel_hi:[0,1]
	v_pk_fma_f32 v[50:51], v[136:137], v[32:33], v[60:61] op_sel:[0,0,1] op_sel_hi:[0,1,0]
	v_pk_fma_f32 v[52:53], v[136:137], v[32:33], v[60:61] op_sel:[0,0,1] op_sel_hi:[0,1,0] neg_lo:[1,0,0] neg_hi:[1,0,0]
	v_pk_fma_f32 v[62:63], v[138:139], v[34:35], v[56:57] op_sel:[0,0,1] op_sel_hi:[0,1,0]
	v_pk_fma_f32 v[60:61], v[138:139], v[34:35], v[56:57] op_sel:[0,0,1] op_sel_hi:[0,1,0] neg_lo:[1,0,0] neg_hi:[1,0,0]
	v_mov_b32_e32 v63, v61
	v_mov_b32_e32 v56, v53
	;; [unrolled: 1-line block ×6, first 2 shown]
	v_pk_add_f32 v[52:53], v[56:57], v[60:61]
	v_pk_add_f32 v[62:63], v[50:51], v[62:63] neg_lo:[0,1] neg_hi:[0,1]
	v_pk_fma_f32 v[52:53], v[52:53], 0.5, v[130:131] op_sel_hi:[1,0,1] neg_lo:[1,0,0] neg_hi:[1,0,0]
	s_nop 0
	v_pk_fma_f32 v[50:51], v[62:63], s[14:15], v[52:53] op_sel_hi:[1,0,1] neg_lo:[1,0,0] neg_hi:[1,0,0]
	v_pk_fma_f32 v[52:53], v[62:63], s[14:15], v[52:53] op_sel_hi:[1,0,1]
	v_pk_add_f32 v[62:63], v[144:145], v[146:147]
	s_nop 0
	v_pk_fma_f32 v[58:59], v[62:63], 0.5, v[58:59] op_sel_hi:[1,0,1] neg_lo:[1,0,0] neg_hi:[1,0,0]
	v_pk_add_f32 v[62:63], v[144:145], v[146:147] neg_lo:[0,1] neg_hi:[0,1]
	s_nop 0
	v_pk_mul_f32 v[62:63], v[62:63], s[14:15] op_sel_hi:[1,0]
	s_nop 0
	v_pk_add_f32 v[134:135], v[58:59], v[62:63] op_sel:[0,1] op_sel_hi:[1,0]
	v_pk_add_f32 v[58:59], v[58:59], v[62:63] op_sel:[0,1] op_sel_hi:[1,0] neg_lo:[0,1] neg_hi:[0,1]
	v_mov_b32_e32 v62, v134
	v_mov_b32_e32 v63, v59
	;; [unrolled: 1-line block ×3, first 2 shown]
	s_waitcnt vmcnt(0)
	v_pk_mul_f32 v[134:135], v[54:55], v[44:45] op_sel:[0,1]
	s_nop 0
	v_pk_fma_f32 v[140:141], v[54:55], v[44:45], v[134:135] op_sel:[0,0,1] op_sel_hi:[1,1,0] neg_lo:[0,0,1] neg_hi:[0,0,1]
	v_pk_fma_f32 v[54:55], v[54:55], v[44:45], v[134:135] op_sel:[0,0,1] op_sel_hi:[1,0,0]
	s_nop 0
	v_mov_b32_e32 v54, v47
	v_mov_b32_e32 v141, v55
	v_pk_mul_f32 v[54:55], v[132:133], v[54:55] op_sel_hi:[1,0]
	s_nop 0
	v_pk_fma_f32 v[134:135], v[132:133], v[46:47], v[54:55] op_sel:[0,0,1] op_sel_hi:[1,1,0] neg_lo:[0,0,1] neg_hi:[0,0,1]
	v_pk_fma_f32 v[54:55], v[132:133], v[46:47], v[54:55] op_sel:[0,0,1] op_sel_hi:[1,0,0]
	s_nop 0
	v_mov_b32_e32 v135, v55
	v_pk_add_f32 v[54:55], v[48:49], v[140:141]
	s_nop 0
	v_pk_add_f32 v[54:55], v[54:55], v[134:135]
	ds_write_b64 v64, v[54:55] offset:2400
	v_pk_add_f32 v[54:55], v[140:141], v[134:135]
	s_nop 0
	v_pk_fma_f32 v[48:49], v[54:55], 0.5, v[48:49] op_sel_hi:[1,0,1] neg_lo:[1,0,0] neg_hi:[1,0,0]
	v_pk_add_f32 v[54:55], v[140:141], v[134:135] neg_lo:[0,1] neg_hi:[0,1]
	s_nop 0
	v_pk_mul_f32 v[54:55], v[54:55], s[14:15] op_sel_hi:[1,0]
	s_nop 0
	v_pk_add_f32 v[132:133], v[48:49], v[54:55] op_sel:[0,1] op_sel_hi:[1,0]
	v_pk_add_f32 v[48:49], v[48:49], v[54:55] op_sel:[0,1] op_sel_hi:[1,0] neg_lo:[0,1] neg_hi:[0,1]
	v_mov_b32_e32 v54, v132
	v_mov_b32_e32 v55, v49
	ds_write2_b64 v142, v[62:63], v[54:55] offset0:10 offset1:160
	v_mov_b32_e32 v49, v133
	v_add_u32_e32 v54, 0x2200, v64
	ds_write2_b64 v54, v[58:59], v[48:49] offset0:62 offset1:212
	s_and_saveexec_b64 s[10:11], s[0:1]
	s_cbranch_execz .LBB0_5
; %bb.4:
	v_pk_add_f32 v[48:49], v[130:131], v[56:57]
	s_nop 0
	v_pk_add_f32 v[48:49], v[48:49], v[60:61]
	ds_write_b64 v64, v[48:49] offset:3600
	v_mov_b32_e32 v48, v52
	v_mov_b32_e32 v49, v51
	ds_write_b64 v64, v[48:49] offset:7600
	v_mov_b32_e32 v48, v50
	v_mov_b32_e32 v49, v53
	ds_write_b64 v64, v[48:49] offset:11600
.LBB0_5:
	s_or_b64 exec, exec, s[10:11]
	v_lshlrev_b32_e32 v48, 3, v66
	v_mov_b32_e32 v49, 0
	v_lshl_add_u64 v[62:63], s[8:9], 0, v[48:49]
	v_add_co_u32_e32 v48, vcc, 0x2000, v62
	s_waitcnt lgkmcnt(0)
	s_nop 0
	v_addc_co_u32_e32 v49, vcc, 0, v63, vcc
	s_barrier
	global_load_dwordx2 v[48:49], v[48:49], off offset:3808
	ds_read2_b64 v[54:57], v64 offset1:150
	s_mov_b64 s[8:9], 0x2ee0
	v_lshl_add_u64 v[134:135], v[62:63], 0, s[8:9]
	s_movk_i32 s8, 0x4000
	s_mov_b32 s14, 0x3f167918
	s_mov_b32 s10, 0x3e9e377a
	;; [unrolled: 1-line block ×8, first 2 shown]
	s_waitcnt vmcnt(0) lgkmcnt(0)
	v_mul_f32_e32 v58, v55, v49
	v_mul_f32_e32 v59, v54, v49
	v_fma_f32 v58, v54, v48, -v58
	v_fmac_f32_e32 v59, v55, v48
	global_load_dwordx2 v[54:55], v[134:135], off offset:2400
	ds_write_b64 v64, v[58:59]
	v_add_u32_e32 v48, 0x800, v64
	ds_read2_b64 v[58:61], v48 offset0:44 offset1:194
	s_waitcnt vmcnt(0) lgkmcnt(0)
	v_mul_f32_e32 v49, v59, v55
	v_fma_f32 v148, v58, v54, -v49
	v_mul_f32_e32 v149, v58, v55
	v_add_co_u32_e32 v58, vcc, s8, v62
	v_fmac_f32_e32 v149, v59, v54
	s_nop 0
	v_addc_co_u32_e32 v59, vcc, 0, v63, vcc
	global_load_dwordx2 v[140:141], v[58:59], off offset:416
	v_add_u32_e32 v54, 0x1000, v64
	ds_read2_b64 v[130:133], v54 offset0:88 offset1:238
	s_movk_i32 s8, 0x5000
	v_add_co_u32_e32 v62, vcc, s8, v62
	s_mov_b32 s8, 0x3f737871
	s_nop 0
	v_addc_co_u32_e32 v63, vcc, 0, v63, vcc
	s_mov_b32 s17, s8
	s_mov_b32 s21, s8
	s_waitcnt vmcnt(0) lgkmcnt(0)
	v_mul_f32_e32 v49, v131, v141
	v_mul_f32_e32 v151, v130, v141
	v_fma_f32 v150, v130, v140, -v49
	v_fmac_f32_e32 v151, v131, v140
	global_load_dwordx2 v[130:131], v[58:59], off offset:2816
	v_add_u32_e32 v49, 0x1c00, v64
	ds_read2_b64 v[140:143], v49 offset0:4 offset1:154
	s_waitcnt vmcnt(0) lgkmcnt(0)
	v_mul_f32_e32 v55, v141, v131
	v_mul_f32_e32 v153, v140, v131
	v_fma_f32 v152, v140, v130, -v55
	v_fmac_f32_e32 v153, v141, v130
	global_load_dwordx2 v[130:131], v[62:63], off offset:1120
	v_add_u32_e32 v55, 0x2400, v64
	ds_read2_b64 v[144:147], v55 offset0:48 offset1:198
	s_waitcnt vmcnt(0) lgkmcnt(0)
	v_mul_f32_e32 v67, v145, v131
	v_mul_f32_e32 v141, v144, v131
	v_fma_f32 v140, v144, v130, -v67
	v_fmac_f32_e32 v141, v145, v130
	global_load_dwordx2 v[130:131], v[134:135], off offset:1200
	s_waitcnt vmcnt(0)
	v_mul_f32_e32 v67, v57, v131
	v_mul_f32_e32 v145, v56, v131
	v_fma_f32 v144, v56, v130, -v67
	v_fmac_f32_e32 v145, v57, v130
	v_add_u32_e32 v56, 0x400, v64
	ds_write2_b64 v56, v[144:145], v[148:149] offset0:22 offset1:172
	global_load_dwordx2 v[56:57], v[134:135], off offset:3600
	s_waitcnt vmcnt(0)
	v_mul_f32_e32 v67, v61, v57
	v_mul_f32_e32 v131, v60, v57
	v_fma_f32 v130, v60, v56, -v67
	v_fmac_f32_e32 v131, v61, v56
	v_add_u32_e32 v56, 0xc00, v64
	ds_write2_b64 v56, v[130:131], v[150:151] offset0:66 offset1:216
	;; [unrolled: 8-line block ×4, first 2 shown]
	global_load_dwordx2 v[56:57], v[62:63], off offset:2320
	s_waitcnt vmcnt(0)
	v_mul_f32_e32 v58, v147, v57
	v_mul_f32_e32 v59, v146, v57
	v_fma_f32 v58, v146, v56, -v58
	v_fmac_f32_e32 v59, v147, v56
	ds_write_b64 v64, v[58:59] offset:10800
	s_waitcnt lgkmcnt(0)
	s_barrier
	ds_read2_b64 v[56:59], v64 offset1:150
	ds_read2_b64 v[60:63], v48 offset0:44 offset1:194
	ds_read2_b64 v[130:133], v54 offset0:88 offset1:238
	;; [unrolled: 1-line block ×4, first 2 shown]
	s_waitcnt lgkmcnt(0)
	v_pk_add_f32 v[148:149], v[56:57], v[60:61]
	v_pk_add_f32 v[160:161], v[60:61], v[130:131] neg_lo:[0,1] neg_hi:[0,1]
	v_pk_add_f32 v[150:151], v[130:131], v[140:141]
	v_pk_add_f32 v[152:153], v[60:61], v[144:145] neg_lo:[0,1] neg_hi:[0,1]
	v_pk_fma_f32 v[150:151], v[150:151], 0.5, v[56:57] op_sel_hi:[1,0,1] neg_lo:[1,0,0] neg_hi:[1,0,0]
	v_pk_mul_f32 v[154:155], v[152:153], s[8:9] op_sel_hi:[1,0]
	v_pk_add_f32 v[156:157], v[130:131], v[140:141] neg_lo:[0,1] neg_hi:[0,1]
	v_pk_add_f32 v[162:163], v[144:145], v[140:141] neg_lo:[0,1] neg_hi:[0,1]
	v_pk_mul_f32 v[158:159], v[156:157], s[14:15] op_sel_hi:[1,0]
	v_pk_add_f32 v[160:161], v[160:161], v[162:163]
	v_pk_add_f32 v[162:163], v[150:151], v[154:155] op_sel:[0,1] op_sel_hi:[1,0] neg_lo:[0,1] neg_hi:[0,1]
	v_pk_add_f32 v[150:151], v[150:151], v[154:155] op_sel:[0,1] op_sel_hi:[1,0]
	v_pk_add_f32 v[148:149], v[148:149], v[130:131]
	v_pk_add_f32 v[150:151], v[150:151], v[158:159] op_sel:[0,1] op_sel_hi:[1,0]
	v_pk_add_f32 v[154:155], v[162:163], v[158:159] op_sel:[0,1] op_sel_hi:[1,0] neg_lo:[0,1] neg_hi:[0,1]
	v_pk_add_f32 v[148:149], v[148:149], v[140:141]
	v_mov_b32_e32 v158, v154
	v_mov_b32_e32 v159, v151
	v_pk_add_f32 v[148:149], v[148:149], v[144:145]
	v_pk_fma_f32 v[158:159], v[160:161], s[10:11], v[158:159] op_sel_hi:[1,0,1]
	s_barrier
	ds_write2_b64 v65, v[148:149], v[158:159] offset1:1
	v_pk_add_f32 v[148:149], v[60:61], v[144:145]
	v_pk_add_f32 v[60:61], v[130:131], v[60:61] neg_lo:[0,1] neg_hi:[0,1]
	v_pk_add_f32 v[130:131], v[140:141], v[144:145] neg_lo:[0,1] neg_hi:[0,1]
	v_pk_fma_f32 v[56:57], v[148:149], 0.5, v[56:57] op_sel_hi:[1,0,1] neg_lo:[1,0,0] neg_hi:[1,0,0]
	v_pk_add_f32 v[60:61], v[60:61], v[130:131]
	v_pk_mul_f32 v[130:131], v[156:157], s[8:9] op_sel_hi:[1,0]
	v_pk_mul_f32 v[140:141], v[152:153], s[14:15] op_sel_hi:[1,0]
	v_pk_add_f32 v[144:145], v[56:57], v[130:131] op_sel:[0,1] op_sel_hi:[1,0]
	v_pk_add_f32 v[56:57], v[56:57], v[130:131] op_sel:[0,1] op_sel_hi:[1,0] neg_lo:[0,1] neg_hi:[0,1]
	v_pk_add_f32 v[130:131], v[144:145], v[140:141] op_sel:[0,1] op_sel_hi:[1,0] neg_lo:[0,1] neg_hi:[0,1]
	v_pk_add_f32 v[56:57], v[56:57], v[140:141] op_sel:[0,1] op_sel_hi:[1,0]
	v_mov_b32_e32 v140, v130
	v_mov_b32_e32 v141, v57
	;; [unrolled: 1-line block ×3, first 2 shown]
	v_pk_fma_f32 v[140:141], v[60:61], s[10:11], v[140:141] op_sel_hi:[1,0,1]
	v_pk_fma_f32 v[56:57], v[60:61], s[10:11], v[56:57] op_sel_hi:[1,0,1]
	v_mov_b32_e32 v151, v155
	ds_write2_b64 v65, v[140:141], v[56:57] offset0:2 offset1:3
	v_pk_fma_f32 v[56:57], v[160:161], s[10:11], v[150:151] op_sel_hi:[1,0,1]
	ds_write_b64 v65, v[56:57] offset:32
	v_pk_add_f32 v[56:57], v[132:133], v[142:143]
	v_pk_add_f32 v[60:61], v[62:63], v[146:147] neg_lo:[0,1] neg_hi:[0,1]
	v_pk_fma_f32 v[56:57], v[56:57], 0.5, v[58:59] op_sel_hi:[1,0,1] neg_lo:[1,0,0] neg_hi:[1,0,0]
	v_pk_mul_f32 v[130:131], v[60:61], s[8:9] op_sel_hi:[1,0]
	v_pk_add_f32 v[140:141], v[132:133], v[142:143] neg_lo:[0,1] neg_hi:[0,1]
	v_pk_add_f32 v[148:149], v[62:63], v[132:133] neg_lo:[0,1] neg_hi:[0,1]
	v_pk_add_f32 v[150:151], v[146:147], v[142:143] neg_lo:[0,1] neg_hi:[0,1]
	v_pk_add_f32 v[134:135], v[58:59], v[62:63]
	v_pk_mul_f32 v[144:145], v[140:141], s[14:15] op_sel_hi:[1,0]
	v_pk_add_f32 v[148:149], v[148:149], v[150:151]
	v_pk_add_f32 v[150:151], v[56:57], v[130:131] op_sel:[0,1] op_sel_hi:[1,0] neg_lo:[0,1] neg_hi:[0,1]
	v_pk_add_f32 v[56:57], v[56:57], v[130:131] op_sel:[0,1] op_sel_hi:[1,0]
	v_pk_add_f32 v[134:135], v[134:135], v[132:133]
	v_pk_add_f32 v[56:57], v[56:57], v[144:145] op_sel:[0,1] op_sel_hi:[1,0]
	v_pk_add_f32 v[130:131], v[150:151], v[144:145] op_sel:[0,1] op_sel_hi:[1,0] neg_lo:[0,1] neg_hi:[0,1]
	v_pk_add_f32 v[134:135], v[134:135], v[142:143]
	v_mov_b32_e32 v144, v130
	v_mov_b32_e32 v145, v57
	v_pk_add_f32 v[134:135], v[134:135], v[146:147]
	v_pk_fma_f32 v[144:145], v[148:149], s[10:11], v[144:145] op_sel_hi:[1,0,1]
	ds_write2_b64 v79, v[134:135], v[144:145] offset1:1
	v_pk_add_f32 v[134:135], v[62:63], v[146:147]
	v_pk_add_f32 v[62:63], v[132:133], v[62:63] neg_lo:[0,1] neg_hi:[0,1]
	v_pk_add_f32 v[132:133], v[142:143], v[146:147] neg_lo:[0,1] neg_hi:[0,1]
	v_pk_fma_f32 v[58:59], v[134:135], 0.5, v[58:59] op_sel_hi:[1,0,1] neg_lo:[1,0,0] neg_hi:[1,0,0]
	v_pk_add_f32 v[62:63], v[62:63], v[132:133]
	v_pk_mul_f32 v[132:133], v[140:141], s[8:9] op_sel_hi:[1,0]
	v_pk_mul_f32 v[60:61], v[60:61], s[14:15] op_sel_hi:[1,0]
	v_pk_add_f32 v[134:135], v[58:59], v[132:133] op_sel:[0,1] op_sel_hi:[1,0]
	v_pk_add_f32 v[58:59], v[58:59], v[132:133] op_sel:[0,1] op_sel_hi:[1,0] neg_lo:[0,1] neg_hi:[0,1]
	v_mov_b32_e32 v57, v131
	v_pk_add_f32 v[58:59], v[58:59], v[60:61] op_sel:[0,1] op_sel_hi:[1,0]
	v_pk_add_f32 v[60:61], v[134:135], v[60:61] op_sel:[0,1] op_sel_hi:[1,0] neg_lo:[0,1] neg_hi:[0,1]
	v_mov_b32_e32 v133, v59
	v_mov_b32_e32 v132, v60
	;; [unrolled: 1-line block ×3, first 2 shown]
	v_pk_fma_f32 v[132:133], v[62:63], s[10:11], v[132:133] op_sel_hi:[1,0,1]
	v_pk_fma_f32 v[58:59], v[62:63], s[10:11], v[58:59] op_sel_hi:[1,0,1]
	;; [unrolled: 1-line block ×3, first 2 shown]
	ds_write2_b64 v79, v[132:133], v[58:59] offset0:2 offset1:3
	ds_write_b64 v79, v[56:57] offset:32
	s_waitcnt lgkmcnt(0)
	s_barrier
	ds_read2_b64 v[56:59], v64 offset1:150
	ds_read2_b64 v[60:63], v48 offset0:44 offset1:194
	ds_read2_b64 v[130:133], v54 offset0:88 offset1:238
	;; [unrolled: 1-line block ×4, first 2 shown]
	s_waitcnt lgkmcnt(4)
	v_pk_mul_f32 v[124:125], v[124:125], v[58:59]
	s_mov_b32 s11, s14
	v_pk_fma_f32 v[134:135], v[4:5], v[58:59], v[124:125] op_sel:[0,0,1] op_sel_hi:[1,1,0]
	v_pk_fma_f32 v[4:5], v[4:5], v[58:59], v[124:125] op_sel:[0,0,1] op_sel_hi:[1,1,0] neg_lo:[0,0,1] neg_hi:[0,0,1]
	s_waitcnt lgkmcnt(3)
	v_pk_mul_f32 v[58:59], v[98:99], v[60:61]
	v_mov_b32_e32 v135, v5
	v_pk_fma_f32 v[98:99], v[6:7], v[60:61], v[58:59] op_sel:[0,0,1] op_sel_hi:[1,1,0]
	v_pk_fma_f32 v[6:7], v[6:7], v[60:61], v[58:59] op_sel:[0,0,1] op_sel_hi:[1,1,0] neg_lo:[0,0,1] neg_hi:[0,0,1]
	s_waitcnt lgkmcnt(0)
	v_mov_b32_e32 v99, v7
	v_pk_mul_f32 v[6:7], v[122:123], v[62:63]
	s_barrier
	v_pk_fma_f32 v[58:59], v[0:1], v[62:63], v[6:7] op_sel:[0,0,1] op_sel_hi:[1,1,0]
	v_pk_fma_f32 v[0:1], v[0:1], v[62:63], v[6:7] op_sel:[0,0,1] op_sel_hi:[1,1,0] neg_lo:[0,0,1] neg_hi:[0,0,1]
	v_pk_mul_f32 v[6:7], v[96:97], v[130:131]
	v_mov_b32_e32 v59, v1
	v_pk_fma_f32 v[60:61], v[2:3], v[130:131], v[6:7] op_sel:[0,0,1] op_sel_hi:[1,1,0]
	v_pk_fma_f32 v[2:3], v[2:3], v[130:131], v[6:7] op_sel:[0,0,1] op_sel_hi:[1,1,0] neg_lo:[0,0,1] neg_hi:[0,0,1]
	s_nop 0
	v_mov_b32_e32 v61, v3
	v_pk_mul_f32 v[2:3], v[120:121], v[132:133]
	v_mov_b32_e32 v120, v58
	v_pk_fma_f32 v[6:7], v[8:9], v[132:133], v[2:3] op_sel:[0,0,1] op_sel_hi:[1,1,0]
	v_pk_fma_f32 v[2:3], v[8:9], v[132:133], v[2:3] op_sel:[0,0,1] op_sel_hi:[1,1,0] neg_lo:[0,0,1] neg_hi:[0,0,1]
	v_pk_mul_f32 v[8:9], v[94:95], v[140:141]
	v_mov_b32_e32 v122, v6
	v_pk_fma_f32 v[62:63], v[10:11], v[140:141], v[8:9] op_sel:[0,0,1] op_sel_hi:[1,1,0]
	v_pk_fma_f32 v[8:9], v[10:11], v[140:141], v[8:9] op_sel:[0,0,1] op_sel_hi:[1,1,0] neg_lo:[0,0,1] neg_hi:[0,0,1]
	v_mov_b32_e32 v7, v3
	v_mov_b32_e32 v63, v9
	v_pk_mul_f32 v[8:9], v[118:119], v[142:143]
	s_nop 0
	v_pk_fma_f32 v[10:11], v[12:13], v[142:143], v[8:9] op_sel:[0,0,1] op_sel_hi:[1,1,0]
	v_pk_fma_f32 v[8:9], v[12:13], v[142:143], v[8:9] op_sel:[0,0,1] op_sel_hi:[1,1,0] neg_lo:[0,0,1] neg_hi:[0,0,1]
	v_pk_mul_f32 v[12:13], v[92:93], v[144:145]
	v_mov_b32_e32 v123, v10
	v_pk_fma_f32 v[92:93], v[14:15], v[144:145], v[12:13] op_sel:[0,0,1] op_sel_hi:[1,1,0]
	v_pk_fma_f32 v[12:13], v[14:15], v[144:145], v[12:13] op_sel:[0,0,1] op_sel_hi:[1,1,0] neg_lo:[0,0,1] neg_hi:[0,0,1]
	v_mov_b32_e32 v11, v9
	v_mov_b32_e32 v93, v13
	v_pk_mul_f32 v[12:13], v[90:91], v[146:147]
	v_pk_add_f32 v[94:95], v[6:7], v[10:11]
	v_pk_fma_f32 v[14:15], v[128:129], v[146:147], v[12:13] op_sel:[0,0,1] op_sel_hi:[1,1,0]
	v_pk_fma_f32 v[12:13], v[128:129], v[146:147], v[12:13] op_sel:[0,0,1] op_sel_hi:[1,1,0] neg_lo:[0,0,1] neg_hi:[0,0,1]
	v_mov_b32_e32 v121, v14
	v_pk_add_f32 v[124:125], v[120:121], v[122:123] neg_lo:[0,1] neg_hi:[0,1]
	v_mov_b32_e32 v15, v13
	v_mov_b32_e32 v0, v125
	v_pk_add_f32 v[118:119], v[6:7], v[10:11] neg_lo:[0,1] neg_hi:[0,1]
	v_pk_add_f32 v[124:125], v[124:125], v[0:1]
	v_fma_f32 v2, -0.5, v94, v134
	v_pk_add_f32 v[96:97], v[58:59], v[14:15] neg_lo:[0,1] neg_hi:[0,1]
	v_mov_b32_e32 v125, v119
	v_fmamk_f32 v4, v97, 0xbf737871, v2
	v_pk_mul_f32 v[124:125], v[124:125], s[10:11]
	v_fmac_f32_e32 v2, 0x3f737871, v97
	v_pk_add_f32 v[120:121], v[122:123], v[120:121] neg_lo:[0,1] neg_hi:[0,1]
	v_sub_f32_e32 v0, v4, v125
	v_add_f32_e32 v2, v125, v2
	v_mov_b32_e32 v4, v121
	v_add_f32_e32 v0, v124, v0
	v_add_f32_e32 v2, v124, v2
	v_pk_add_f32 v[124:125], v[58:59], v[14:15]
	v_mov_b32_e32 v8, v134
	v_pk_add_f32 v[120:121], v[120:121], v[4:5]
	v_fmac_f32_e32 v8, -0.5, v124
	v_mov_b32_e32 v121, v97
	v_fmamk_f32 v12, v119, 0x3f737871, v8
	v_pk_mul_f32 v[120:121], v[120:121], s[10:11]
	v_fmac_f32_e32 v8, 0xbf737871, v119
	v_add_f32_e32 v8, v121, v8
	v_pk_add_f32 v[58:59], v[134:135], v[58:59]
	v_sub_f32_e32 v4, v12, v121
	v_add_f32_e32 v94, v120, v8
	v_pk_add_f32 v[6:7], v[58:59], v[6:7]
	v_mov_b32_e32 v12, v1
	v_mov_b32_e32 v8, v3
	v_pk_add_f32 v[6:7], v[6:7], v[10:11]
	v_pk_add_f32 v[10:11], v[12:13], v[8:9] neg_lo:[0,1] neg_hi:[0,1]
	v_pk_add_f32 v[6:7], v[6:7], v[14:15]
	v_fma_f32 v15, -0.5, v95, v5
	v_mov_b32_e32 v14, v11
	v_pk_add_f32 v[10:11], v[10:11], v[14:15]
	v_fmamk_f32 v58, v96, 0x3f737871, v15
	v_mov_b32_e32 v11, v118
	v_pk_mul_f32 v[10:11], v[10:11], s[10:11]
	v_pk_add_f32 v[8:9], v[8:9], v[12:13] neg_lo:[0,1] neg_hi:[0,1]
	v_add_f32_e32 v1, v11, v58
	v_fmac_f32_e32 v15, 0xbf737871, v96
	v_mov_b32_e32 v12, v9
	v_add_f32_e32 v14, v10, v1
	v_sub_f32_e32 v1, v15, v11
	v_fmac_f32_e32 v5, -0.5, v125
	v_pk_add_f32 v[8:9], v[8:9], v[12:13]
	v_add_f32_e32 v10, v10, v1
	v_fmamk_f32 v1, v118, 0xbf737871, v5
	v_mov_b32_e32 v9, v96
	v_fmac_f32_e32 v5, 0x3f737871, v118
	v_pk_add_f32 v[96:97], v[60:61], v[62:63]
	v_pk_add_f32 v[118:119], v[98:99], v[92:93] neg_lo:[0,1] neg_hi:[0,1]
	v_add_f32_e32 v4, v120, v4
	v_pk_mul_f32 v[8:9], v[8:9], s[10:11]
	v_pk_fma_f32 v[96:97], v[96:97], 0.5, v[56:57] op_sel_hi:[1,0,1] neg_lo:[1,0,0] neg_hi:[1,0,0]
	v_pk_mul_f32 v[120:121], v[118:119], s[8:9] op_sel_hi:[1,0]
	v_pk_add_f32 v[122:123], v[60:61], v[62:63] neg_lo:[0,1] neg_hi:[0,1]
	v_pk_add_f32 v[128:129], v[98:99], v[60:61] neg_lo:[0,1] neg_hi:[0,1]
	;; [unrolled: 1-line block ×3, first 2 shown]
	v_pk_add_f32 v[90:91], v[56:57], v[98:99]
	v_add_f32_e32 v1, v9, v1
	v_pk_mul_f32 v[124:125], v[122:123], s[14:15] op_sel_hi:[1,0]
	v_pk_add_f32 v[128:129], v[128:129], v[130:131]
	v_pk_add_f32 v[130:131], v[96:97], v[120:121] op_sel:[0,1] op_sel_hi:[1,0] neg_lo:[0,1] neg_hi:[0,1]
	v_pk_add_f32 v[96:97], v[96:97], v[120:121] op_sel:[0,1] op_sel_hi:[1,0]
	s_mov_b32 s15, s18
	v_pk_add_f32 v[90:91], v[90:91], v[60:61]
	v_add_f32_e32 v12, v8, v1
	v_sub_f32_e32 v1, v5, v9
	v_pk_add_f32 v[96:97], v[96:97], v[124:125] op_sel:[0,1] op_sel_hi:[1,0]
	v_pk_add_f32 v[120:121], v[130:131], v[124:125] op_sel:[0,1] op_sel_hi:[1,0] neg_lo:[0,1] neg_hi:[0,1]
	v_pk_mul_f32 v[14:15], v[14:15], s[14:15] op_sel_hi:[0,1]
	v_pk_add_f32 v[90:91], v[90:91], v[62:63]
	v_add_f32_e32 v8, v8, v1
	v_mov_b32_e32 v124, v120
	v_mov_b32_e32 v125, v97
	v_pk_fma_f32 v[130:131], v[0:1], s[18:19], v[14:15] neg_lo:[0,0,1] neg_hi:[0,0,1]
	v_pk_fma_f32 v[0:1], v[0:1], s[18:19], v[14:15] op_sel_hi:[0,1,1]
	v_pk_add_f32 v[90:91], v[90:91], v[92:93]
	v_pk_fma_f32 v[124:125], v[128:129], s[10:11], v[124:125] op_sel_hi:[1,0,1]
	v_mov_b32_e32 v131, v1
	v_pk_add_f32 v[58:59], v[90:91], v[6:7]
	v_pk_add_f32 v[0:1], v[124:125], v[130:131]
	ds_write2_b64 v137, v[58:59], v[0:1] offset1:5
	v_pk_add_f32 v[0:1], v[98:99], v[92:93]
	s_mov_b32 s9, s10
	v_pk_fma_f32 v[0:1], v[0:1], 0.5, v[56:57] op_sel_hi:[1,0,1] neg_lo:[1,0,0] neg_hi:[1,0,0]
	v_pk_add_f32 v[14:15], v[60:61], v[98:99] neg_lo:[0,1] neg_hi:[0,1]
	v_pk_add_f32 v[56:57], v[62:63], v[92:93] neg_lo:[0,1] neg_hi:[0,1]
	v_pk_mul_f32 v[12:13], v[12:13], s[8:9] op_sel_hi:[0,1]
	v_pk_add_f32 v[14:15], v[14:15], v[56:57]
	v_pk_fma_f32 v[56:57], v[4:5], s[16:17], v[12:13] neg_lo:[0,0,1] neg_hi:[0,0,1]
	v_pk_fma_f32 v[4:5], v[4:5], s[16:17], v[12:13] op_sel_hi:[0,1,1]
	v_mov_b32_e32 v57, v5
	v_pk_mul_f32 v[4:5], v[122:123], s[8:9] op_sel_hi:[1,0]
	v_pk_mul_f32 v[12:13], v[118:119], s[14:15] op_sel_hi:[1,0]
	v_pk_add_f32 v[58:59], v[0:1], v[4:5] op_sel:[0,1] op_sel_hi:[1,0]
	v_pk_add_f32 v[0:1], v[0:1], v[4:5] op_sel:[0,1] op_sel_hi:[1,0] neg_lo:[0,1] neg_hi:[0,1]
	v_pk_add_f32 v[4:5], v[58:59], v[12:13] op_sel:[0,1] op_sel_hi:[1,0] neg_lo:[0,1] neg_hi:[0,1]
	v_pk_add_f32 v[0:1], v[0:1], v[12:13] op_sel:[0,1] op_sel_hi:[1,0]
	v_mov_b32_e32 v12, v4
	v_mov_b32_e32 v13, v1
	v_pk_mul_f32 v[8:9], v[8:9], s[8:9] op_sel_hi:[0,1]
	v_mov_b32_e32 v1, v5
	v_pk_fma_f32 v[12:13], v[14:15], s[10:11], v[12:13] op_sel_hi:[1,0,1]
	v_pk_fma_f32 v[8:9], v[94:95], s[20:21], v[8:9] op_sel_hi:[0,1,1] neg_lo:[0,0,1] neg_hi:[0,0,1]
	v_pk_fma_f32 v[0:1], v[14:15], s[10:11], v[0:1] op_sel_hi:[1,0,1]
	v_pk_add_f32 v[58:59], v[12:13], v[56:57]
	v_pk_add_f32 v[4:5], v[0:1], v[8:9]
	ds_write2_b64 v137, v[58:59], v[4:5] offset0:10 offset1:15
	v_pk_mul_f32 v[4:5], v[10:11], s[14:15] op_sel_hi:[0,1]
	v_mov_b32_e32 v97, v121
	v_pk_fma_f32 v[2:3], v[2:3], s[22:23], v[4:5] op_sel_hi:[0,1,1] neg_lo:[0,0,1] neg_hi:[0,0,1]
	v_pk_fma_f32 v[4:5], v[128:129], s[10:11], v[96:97] op_sel_hi:[1,0,1]
	v_pk_add_f32 v[6:7], v[90:91], v[6:7] neg_lo:[0,1] neg_hi:[0,1]
	v_pk_add_f32 v[10:11], v[4:5], v[2:3]
	ds_write2_b64 v137, v[10:11], v[6:7] offset0:20 offset1:25
	v_pk_add_f32 v[6:7], v[124:125], v[130:131] neg_lo:[0,1] neg_hi:[0,1]
	v_pk_add_f32 v[10:11], v[12:13], v[56:57] neg_lo:[0,1] neg_hi:[0,1]
	;; [unrolled: 1-line block ×4, first 2 shown]
	ds_write2_b64 v137, v[6:7], v[10:11] offset0:30 offset1:35
	ds_write2_b64 v137, v[0:1], v[2:3] offset0:40 offset1:45
	s_waitcnt lgkmcnt(0)
	s_barrier
	ds_read2_b64 v[0:3], v64 offset1:150
	ds_read2_b64 v[4:7], v48 offset0:44 offset1:194
	ds_read2_b64 v[8:11], v54 offset0:88 offset1:238
	;; [unrolled: 1-line block ×4, first 2 shown]
	s_waitcnt lgkmcnt(4)
	v_pk_mul_f32 v[62:63], v[116:117], v[2:3]
	s_waitcnt lgkmcnt(3)
	v_pk_mul_f32 v[58:59], v[102:103], v[4:5]
	v_pk_fma_f32 v[90:91], v[16:17], v[2:3], v[62:63] op_sel:[0,0,1] op_sel_hi:[1,1,0]
	v_pk_fma_f32 v[60:61], v[18:19], v[4:5], v[58:59] op_sel:[0,0,1] op_sel_hi:[1,1,0]
	v_pk_fma_f32 v[4:5], v[18:19], v[4:5], v[58:59] op_sel:[0,0,1] op_sel_hi:[1,1,0] neg_lo:[0,0,1] neg_hi:[0,0,1]
	v_pk_fma_f32 v[2:3], v[16:17], v[2:3], v[62:63] op_sel:[0,0,1] op_sel_hi:[1,1,0] neg_lo:[0,0,1] neg_hi:[0,0,1]
	v_mov_b32_e32 v61, v5
	s_waitcnt lgkmcnt(2)
	v_pk_mul_f32 v[4:5], v[104:105], v[8:9]
	v_pk_mul_f32 v[16:17], v[114:115], v[6:7]
	v_pk_fma_f32 v[18:19], v[22:23], v[8:9], v[4:5] op_sel:[0,0,1] op_sel_hi:[1,1,0]
	v_pk_fma_f32 v[4:5], v[22:23], v[8:9], v[4:5] op_sel:[0,0,1] op_sel_hi:[1,1,0] neg_lo:[0,0,1] neg_hi:[0,0,1]
	v_pk_fma_f32 v[62:63], v[20:21], v[6:7], v[16:17] op_sel:[0,0,1] op_sel_hi:[1,1,0]
	v_mov_b32_e32 v19, v5
	s_waitcnt lgkmcnt(1)
	v_pk_mul_f32 v[4:5], v[106:107], v[12:13]
	v_pk_fma_f32 v[6:7], v[20:21], v[6:7], v[16:17] op_sel:[0,0,1] op_sel_hi:[1,1,0] neg_lo:[0,0,1] neg_hi:[0,0,1]
	v_pk_mul_f32 v[16:17], v[112:113], v[10:11]
	v_pk_fma_f32 v[8:9], v[26:27], v[12:13], v[4:5] op_sel:[0,0,1] op_sel_hi:[1,1,0]
	v_pk_fma_f32 v[4:5], v[26:27], v[12:13], v[4:5] op_sel:[0,0,1] op_sel_hi:[1,1,0] neg_lo:[0,0,1] neg_hi:[0,0,1]
	v_pk_fma_f32 v[20:21], v[24:25], v[10:11], v[16:17] op_sel:[0,0,1] op_sel_hi:[1,1,0]
	v_pk_fma_f32 v[10:11], v[24:25], v[10:11], v[16:17] op_sel:[0,0,1] op_sel_hi:[1,1,0] neg_lo:[0,0,1] neg_hi:[0,0,1]
	v_pk_mul_f32 v[16:17], v[110:111], v[14:15]
	v_mov_b32_e32 v9, v5
	s_waitcnt lgkmcnt(0)
	v_pk_mul_f32 v[4:5], v[108:109], v[54:55]
	v_pk_fma_f32 v[24:25], v[28:29], v[14:15], v[16:17] op_sel:[0,0,1] op_sel_hi:[1,1,0]
	v_pk_fma_f32 v[14:15], v[28:29], v[14:15], v[16:17] op_sel:[0,0,1] op_sel_hi:[1,1,0] neg_lo:[0,0,1] neg_hi:[0,0,1]
	v_pk_mul_f32 v[16:17], v[100:101], v[56:57]
	v_pk_fma_f32 v[12:13], v[30:31], v[54:55], v[4:5] op_sel:[0,0,1] op_sel_hi:[1,1,0]
	v_pk_fma_f32 v[4:5], v[30:31], v[54:55], v[4:5] op_sel:[0,0,1] op_sel_hi:[1,1,0] neg_lo:[0,0,1] neg_hi:[0,0,1]
	v_pk_fma_f32 v[28:29], v[126:127], v[56:57], v[16:17] op_sel:[0,0,1] op_sel_hi:[1,1,0]
	v_mov_b32_e32 v13, v5
	v_pk_add_f32 v[4:5], v[18:19], v[8:9]
	v_mov_b32_e32 v96, v62
	v_mov_b32_e32 v97, v28
	;; [unrolled: 1-line block ×4, first 2 shown]
	v_pk_fma_f32 v[4:5], v[4:5], 0.5, v[0:1] op_sel_hi:[1,0,1] neg_lo:[1,0,0] neg_hi:[1,0,0]
	v_pk_add_f32 v[22:23], v[60:61], v[12:13] neg_lo:[0,1] neg_hi:[0,1]
	v_pk_add_f32 v[30:31], v[60:61], v[18:19] neg_lo:[0,1] neg_hi:[0,1]
	;; [unrolled: 1-line block ×5, first 2 shown]
	v_pk_add_f32 v[30:31], v[30:31], v[54:55]
	v_pk_fma_f32 v[54:55], v[22:23], s[8:9], v[4:5] op_sel:[1,0,0] op_sel_hi:[0,0,1]
	v_pk_fma_f32 v[4:5], v[22:23], s[8:9], v[4:5] op_sel:[1,0,0] op_sel_hi:[0,0,1] neg_lo:[1,0,0] neg_hi:[1,0,0]
	v_mov_b32_e32 v21, v11
	v_mov_b32_e32 v25, v15
	v_pk_fma_f32 v[16:17], v[126:127], v[56:57], v[16:17] op_sel:[0,0,1] op_sel_hi:[1,1,0] neg_lo:[0,0,1] neg_hi:[0,0,1]
	v_mov_b32_e32 v2, v101
	v_pk_fma_f32 v[4:5], v[26:27], s[14:15], v[4:5] op_sel:[1,0,0] op_sel_hi:[0,0,1] neg_lo:[1,0,0] neg_hi:[1,0,0]
	v_mov_b32_e32 v63, v7
	v_mov_b32_e32 v29, v17
	v_pk_add_f32 v[56:57], v[20:21], v[24:25]
	v_pk_add_f32 v[94:95], v[20:21], v[24:25] neg_lo:[0,1] neg_hi:[0,1]
	v_pk_add_f32 v[100:101], v[100:101], v[2:3]
	v_mov_b32_e32 v59, v5
	v_fma_f32 v5, -0.5, v56, v90
	v_pk_add_f32 v[92:93], v[62:63], v[28:29] neg_lo:[0,1] neg_hi:[0,1]
	v_mov_b32_e32 v101, v95
	v_fmamk_f32 v6, v93, 0xbf737871, v5
	v_pk_mul_f32 v[100:101], v[100:101], s[10:11]
	v_fmac_f32_e32 v5, 0x3f737871, v93
	v_pk_add_f32 v[96:97], v[98:99], v[96:97] neg_lo:[0,1] neg_hi:[0,1]
	v_sub_f32_e32 v2, v6, v101
	v_add_f32_e32 v5, v101, v5
	v_mov_b32_e32 v10, v97
	v_add_f32_e32 v2, v100, v2
	v_add_f32_e32 v6, v100, v5
	v_pk_add_f32 v[100:101], v[62:63], v[28:29]
	v_mov_b32_e32 v5, v90
	v_pk_add_f32 v[96:97], v[96:97], v[10:11]
	v_mov_b32_e32 v91, v3
	v_fmac_f32_e32 v5, -0.5, v100
	v_mov_b32_e32 v97, v93
	v_fmamk_f32 v14, v95, 0x3f737871, v5
	v_pk_mul_f32 v[96:97], v[96:97], s[10:11]
	v_fmac_f32_e32 v5, 0xbf737871, v95
	v_pk_add_f32 v[62:63], v[90:91], v[62:63]
	v_pk_fma_f32 v[54:55], v[26:27], s[14:15], v[54:55] op_sel:[1,0,0] op_sel_hi:[0,0,1]
	v_sub_f32_e32 v10, v14, v97
	v_add_f32_e32 v5, v97, v5
	v_pk_add_f32 v[20:21], v[62:63], v[20:21]
	v_mov_b32_e32 v16, v7
	v_mov_b32_e32 v14, v11
	;; [unrolled: 1-line block ×3, first 2 shown]
	v_add_f32_e32 v54, v96, v5
	v_pk_add_f32 v[20:21], v[20:21], v[24:25]
	v_fma_f32 v5, -0.5, v57, v3
	v_pk_add_f32 v[24:25], v[16:17], v[14:15] neg_lo:[0,1] neg_hi:[0,1]
	v_pk_add_f32 v[20:21], v[20:21], v[28:29]
	v_fmamk_f32 v29, v92, 0x3f737871, v5
	v_mov_b32_e32 v28, v25
	v_pk_add_f32 v[24:25], v[24:25], v[28:29]
	v_pk_add_f32 v[14:15], v[14:15], v[16:17] neg_lo:[0,1] neg_hi:[0,1]
	v_mov_b32_e32 v25, v94
	v_mov_b32_e32 v16, v15
	v_pk_mul_f32 v[24:25], v[24:25], s[10:11]
	v_fmac_f32_e32 v5, 0xbf737871, v92
	v_pk_add_f32 v[14:15], v[14:15], v[16:17]
	v_add_f32_e32 v7, v25, v29
	v_sub_f32_e32 v5, v5, v25
	v_fmac_f32_e32 v3, -0.5, v101
	v_mov_b32_e32 v15, v92
	v_add_f32_e32 v28, v24, v7
	v_add_f32_e32 v24, v24, v5
	v_fmamk_f32 v5, v94, 0xbf737871, v3
	v_pk_mul_f32 v[14:15], v[14:15], s[10:11]
	v_fmac_f32_e32 v3, 0x3f737871, v94
	v_add_f32_e32 v5, v15, v5
	v_pk_add_f32 v[16:17], v[0:1], v[60:61]
	v_add_f32_e32 v56, v14, v5
	v_sub_f32_e32 v3, v3, v15
	v_pk_add_f32 v[16:17], v[16:17], v[18:19]
	v_mov_b32_e32 v5, v55
	v_pk_mul_f32 v[28:29], v[28:29], s[14:15] op_sel_hi:[0,1]
	v_pk_fma_f32 v[58:59], v[30:31], s[10:11], v[58:59] op_sel_hi:[1,0,1]
	v_add_f32_e32 v14, v14, v3
	v_pk_add_f32 v[16:17], v[16:17], v[8:9]
	v_pk_fma_f32 v[4:5], v[30:31], s[10:11], v[4:5] op_sel_hi:[1,0,1]
	v_pk_fma_f32 v[30:31], v[2:3], s[18:19], v[28:29] neg_lo:[0,0,1] neg_hi:[0,0,1]
	v_pk_fma_f32 v[2:3], v[2:3], s[18:19], v[28:29] op_sel_hi:[0,1,1]
	v_pk_add_f32 v[62:63], v[16:17], v[12:13]
	v_mov_b32_e32 v31, v3
	v_pk_mul_f32 v[16:17], v[24:25], s[14:15] op_sel_hi:[0,1]
	v_pk_add_f32 v[24:25], v[62:63], v[20:21]
	v_pk_add_f32 v[2:3], v[4:5], v[30:31]
	s_barrier
	ds_write2_b64 v139, v[24:25], v[2:3] offset1:50
	v_pk_add_f32 v[2:3], v[60:61], v[12:13]
	v_pk_add_f32 v[8:9], v[8:9], v[12:13] neg_lo:[0,1] neg_hi:[0,1]
	v_pk_fma_f32 v[0:1], v[2:3], 0.5, v[0:1] op_sel_hi:[1,0,1] neg_lo:[1,0,0] neg_hi:[1,0,0]
	v_pk_add_f32 v[2:3], v[18:19], v[60:61] neg_lo:[0,1] neg_hi:[0,1]
	v_add_f32_e32 v10, v96, v10
	v_pk_add_f32 v[2:3], v[2:3], v[8:9]
	v_pk_fma_f32 v[8:9], v[26:27], s[8:9], v[0:1] op_sel:[1,0,0] op_sel_hi:[0,0,1]
	v_pk_fma_f32 v[0:1], v[26:27], s[8:9], v[0:1] op_sel:[1,0,0] op_sel_hi:[0,0,1] neg_lo:[1,0,0] neg_hi:[1,0,0]
	v_pk_fma_f32 v[0:1], v[22:23], s[14:15], v[0:1] op_sel:[1,0,0] op_sel_hi:[0,0,1]
	v_pk_fma_f32 v[8:9], v[22:23], s[14:15], v[8:9] op_sel:[1,0,0] op_sel_hi:[0,0,1] neg_lo:[1,0,0] neg_hi:[1,0,0]
	v_pk_mul_f32 v[18:19], v[56:57], s[8:9] op_sel_hi:[0,1]
	v_mov_b32_e32 v12, v8
	v_mov_b32_e32 v13, v1
	v_pk_fma_f32 v[22:23], v[10:11], s[16:17], v[18:19] neg_lo:[0,0,1] neg_hi:[0,0,1]
	v_pk_fma_f32 v[10:11], v[10:11], s[16:17], v[18:19] op_sel_hi:[0,1,1]
	v_pk_mul_f32 v[14:15], v[14:15], s[8:9] op_sel_hi:[0,1]
	v_mov_b32_e32 v1, v9
	v_pk_fma_f32 v[12:13], v[2:3], s[10:11], v[12:13] op_sel_hi:[1,0,1]
	v_mov_b32_e32 v23, v11
	v_pk_fma_f32 v[14:15], v[54:55], s[20:21], v[14:15] op_sel_hi:[0,1,1] neg_lo:[0,0,1] neg_hi:[0,0,1]
	v_pk_fma_f32 v[0:1], v[2:3], s[10:11], v[0:1] op_sel_hi:[1,0,1]
	v_pk_fma_f32 v[6:7], v[6:7], s[22:23], v[16:17] op_sel_hi:[0,1,1] neg_lo:[0,0,1] neg_hi:[0,0,1]
	v_pk_add_f32 v[10:11], v[12:13], v[22:23]
	v_pk_add_f32 v[2:3], v[0:1], v[14:15]
	v_pk_add_f32 v[16:17], v[58:59], v[6:7] neg_lo:[0,1] neg_hi:[0,1]
	ds_write2_b64 v139, v[10:11], v[2:3] offset0:100 offset1:150
	v_pk_add_f32 v[2:3], v[58:59], v[6:7]
	v_pk_add_f32 v[6:7], v[62:63], v[20:21] neg_lo:[0,1] neg_hi:[0,1]
	ds_write2_b64 v139, v[2:3], v[6:7] offset0:200 offset1:250
	v_pk_add_f32 v[2:3], v[4:5], v[30:31] neg_lo:[0,1] neg_hi:[0,1]
	v_pk_add_f32 v[4:5], v[12:13], v[22:23] neg_lo:[0,1] neg_hi:[0,1]
	v_add_u32_e32 v6, 0x800, v139
	v_pk_add_f32 v[0:1], v[0:1], v[14:15] neg_lo:[0,1] neg_hi:[0,1]
	ds_write2_b64 v6, v[2:3], v[4:5] offset0:44 offset1:94
	ds_write2_b64 v6, v[0:1], v[16:17] offset0:144 offset1:194
	s_waitcnt lgkmcnt(0)
	s_barrier
	ds_read2_b64 v[8:11], v64 offset1:150
	ds_read2_b64 v[0:3], v48 offset0:44 offset1:244
	ds_read2_b64 v[12:15], v49 offset0:104 offset1:254
	v_add_u32_e32 v4, 0x1400, v64
	ds_read2_b64 v[4:7], v4 offset0:10 offset1:160
	ds_read_b64 v[18:19], v64 offset:10400
	s_and_saveexec_b64 s[8:9], s[2:3]
	s_xor_b64 s[2:3], exec, s[8:9]
	s_or_saveexec_b64 s[2:3], s[2:3]
	v_mov_b32_e32 v30, v36
	v_mov_b32_e32 v31, v36
	;; [unrolled: 1-line block ×18, first 2 shown]
	s_xor_b64 exec, exec, s[2:3]
	s_cbranch_execz .LBB0_7
; %bb.6:
	ds_read_b64 v[48:49], v64 offset:7600
	ds_read_b64 v[50:51], v64 offset:11600
	;; [unrolled: 1-line block ×3, first 2 shown]
	s_waitcnt lgkmcnt(2)
	v_mov_b32_e32 v52, v48
	s_waitcnt lgkmcnt(1)
	v_mov_b32_e32 v53, v51
	v_mov_b32_e32 v51, v49
.LBB0_7:
	s_or_b64 exec, exec, s[2:3]
	s_waitcnt lgkmcnt(3)
	v_pk_mul_f32 v[36:37], v[36:37], v[2:3]
	s_waitcnt lgkmcnt(2)
	v_pk_mul_f32 v[38:39], v[38:39], v[12:13]
	v_pk_fma_f32 v[48:49], v[30:31], v[2:3], v[36:37] op_sel:[0,0,1] op_sel_hi:[1,1,0]
	v_pk_fma_f32 v[2:3], v[30:31], v[2:3], v[36:37] op_sel:[0,0,1] op_sel_hi:[1,1,0] neg_lo:[0,0,1] neg_hi:[0,0,1]
	s_mov_b32 s2, 0x3f5db3d7
	v_mov_b32_e32 v49, v3
	v_pk_fma_f32 v[2:3], v[28:29], v[12:13], v[38:39] op_sel:[0,0,1] op_sel_hi:[1,1,0]
	v_pk_fma_f32 v[12:13], v[28:29], v[12:13], v[38:39] op_sel:[0,0,1] op_sel_hi:[1,1,0] neg_lo:[0,0,1] neg_hi:[0,0,1]
	s_waitcnt lgkmcnt(1)
	v_pk_mul_f32 v[40:41], v[40:41], v[4:5]
	v_mov_b32_e32 v3, v13
	v_pk_add_f32 v[12:13], v[8:9], v[48:49]
	v_pk_add_f32 v[28:29], v[48:49], v[2:3]
	;; [unrolled: 1-line block ×3, first 2 shown]
	v_pk_add_f32 v[2:3], v[48:49], v[2:3] neg_lo:[0,1] neg_hi:[0,1]
	v_pk_fma_f32 v[8:9], v[28:29], 0.5, v[8:9] op_sel_hi:[1,0,1] neg_lo:[1,0,0] neg_hi:[1,0,0]
	v_pk_mul_f32 v[2:3], v[2:3], s[2:3] op_sel_hi:[1,0]
	v_pk_mul_f32 v[42:43], v[42:43], v[14:15]
	v_pk_add_f32 v[28:29], v[8:9], v[2:3] op_sel:[0,1] op_sel_hi:[1,0] neg_lo:[0,1] neg_hi:[0,1]
	v_pk_add_f32 v[2:3], v[8:9], v[2:3] op_sel:[0,1] op_sel_hi:[1,0]
	v_mov_b32_e32 v8, v28
	v_mov_b32_e32 v9, v3
	v_mov_b32_e32 v3, v29
	ds_write_b64 v64, v[2:3] offset:8000
	v_pk_fma_f32 v[2:3], v[26:27], v[4:5], v[40:41] op_sel:[0,0,1] op_sel_hi:[1,1,0]
	v_pk_fma_f32 v[4:5], v[26:27], v[4:5], v[40:41] op_sel:[0,0,1] op_sel_hi:[1,1,0] neg_lo:[0,0,1] neg_hi:[0,0,1]
	ds_write_b64 v64, v[8:9] offset:4000
	v_mov_b32_e32 v3, v5
	v_pk_fma_f32 v[4:5], v[24:25], v[14:15], v[42:43] op_sel:[0,0,1] op_sel_hi:[1,1,0]
	v_pk_fma_f32 v[8:9], v[24:25], v[14:15], v[42:43] op_sel:[0,0,1] op_sel_hi:[1,1,0] neg_lo:[0,0,1] neg_hi:[0,0,1]
	v_pk_mul_f32 v[44:45], v[44:45], v[6:7]
	v_mov_b32_e32 v5, v9
	v_pk_add_f32 v[8:9], v[10:11], v[2:3]
	s_waitcnt lgkmcnt(2)
	v_pk_mul_f32 v[46:47], v[46:47], v[18:19]
	v_pk_add_f32 v[8:9], v[8:9], v[4:5]
	ds_write2_b64 v64, v[12:13], v[8:9] offset1:150
	v_pk_add_f32 v[8:9], v[2:3], v[4:5]
	v_pk_add_f32 v[2:3], v[2:3], v[4:5] neg_lo:[0,1] neg_hi:[0,1]
	v_pk_fma_f32 v[8:9], v[8:9], 0.5, v[10:11] op_sel_hi:[1,0,1] neg_lo:[1,0,0] neg_hi:[1,0,0]
	v_pk_mul_f32 v[2:3], v[2:3], s[2:3] op_sel_hi:[1,0]
	v_pk_fma_f32 v[10:11], v[20:21], v[18:19], v[46:47] op_sel:[0,0,1] op_sel_hi:[1,1,0] neg_lo:[0,0,1] neg_hi:[0,0,1]
	v_pk_add_f32 v[4:5], v[8:9], v[2:3] op_sel:[0,1] op_sel_hi:[1,0] neg_lo:[0,1] neg_hi:[0,1]
	v_pk_add_f32 v[2:3], v[8:9], v[2:3] op_sel:[0,1] op_sel_hi:[1,0]
	v_mov_b32_e32 v8, v4
	v_mov_b32_e32 v9, v3
	;; [unrolled: 1-line block ×3, first 2 shown]
	v_pk_fma_f32 v[4:5], v[22:23], v[6:7], v[44:45] op_sel:[0,0,1] op_sel_hi:[1,1,0]
	v_pk_fma_f32 v[6:7], v[22:23], v[6:7], v[44:45] op_sel:[0,0,1] op_sel_hi:[1,1,0] neg_lo:[0,0,1] neg_hi:[0,0,1]
	s_nop 0
	v_mov_b32_e32 v5, v7
	v_pk_fma_f32 v[6:7], v[20:21], v[18:19], v[46:47] op_sel:[0,0,1] op_sel_hi:[1,1,0]
	s_nop 0
	v_mov_b32_e32 v7, v11
	v_pk_add_f32 v[10:11], v[0:1], v[4:5]
	s_nop 0
	v_pk_add_f32 v[10:11], v[10:11], v[6:7]
	ds_write_b64 v64, v[10:11] offset:2400
	v_pk_add_f32 v[10:11], v[4:5], v[6:7]
	v_pk_add_f32 v[4:5], v[4:5], v[6:7] neg_lo:[0,1] neg_hi:[0,1]
	v_pk_fma_f32 v[0:1], v[10:11], 0.5, v[0:1] op_sel_hi:[1,0,1] neg_lo:[1,0,0] neg_hi:[1,0,0]
	v_pk_mul_f32 v[4:5], v[4:5], s[2:3] op_sel_hi:[1,0]
	s_nop 0
	v_pk_add_f32 v[6:7], v[0:1], v[4:5] op_sel:[0,1] op_sel_hi:[1,0] neg_lo:[0,1] neg_hi:[0,1]
	v_pk_add_f32 v[0:1], v[0:1], v[4:5] op_sel:[0,1] op_sel_hi:[1,0]
	v_mov_b32_e32 v4, v6
	v_mov_b32_e32 v5, v1
	v_add_u32_e32 v1, 0x1400, v64
	ds_write2_b64 v1, v[8:9], v[4:5] offset0:10 offset1:160
	v_mov_b32_e32 v1, v7
	v_add_u32_e32 v4, 0x2200, v64
	ds_write2_b64 v4, v[2:3], v[0:1] offset0:62 offset1:212
	s_and_saveexec_b64 s[8:9], s[0:1]
	s_cbranch_execz .LBB0_9
; %bb.8:
	v_pk_mul_f32 v[0:1], v[32:33], v[50:51] op_sel:[0,1]
	v_pk_mul_f32 v[2:3], v[34:35], v[52:53] op_sel:[0,1]
	v_pk_fma_f32 v[4:5], v[32:33], v[52:53], v[0:1] op_sel:[0,0,1] op_sel_hi:[1,1,0]
	v_pk_fma_f32 v[0:1], v[32:33], v[52:53], v[0:1] op_sel:[0,0,1] op_sel_hi:[1,0,0] neg_lo:[1,0,0] neg_hi:[1,0,0]
	s_nop 0
	v_mov_b32_e32 v5, v1
	v_pk_fma_f32 v[0:1], v[34:35], v[50:51], v[2:3] op_sel:[0,0,1] op_sel_hi:[1,1,0]
	v_pk_fma_f32 v[2:3], v[34:35], v[50:51], v[2:3] op_sel:[0,0,1] op_sel_hi:[1,0,0] neg_lo:[1,0,0] neg_hi:[1,0,0]
	s_nop 0
	v_mov_b32_e32 v1, v3
	v_pk_add_f32 v[2:3], v[16:17], v[4:5]
	s_nop 0
	v_pk_add_f32 v[2:3], v[2:3], v[0:1]
	ds_write_b64 v64, v[2:3] offset:3600
	v_pk_add_f32 v[2:3], v[4:5], v[0:1]
	v_pk_add_f32 v[0:1], v[4:5], v[0:1] neg_lo:[0,1] neg_hi:[0,1]
	v_pk_fma_f32 v[2:3], -0.5, v[2:3], v[16:17] op_sel_hi:[0,1,1]
	v_pk_mul_f32 v[0:1], v[0:1], s[2:3] op_sel_hi:[1,0]
	s_nop 0
	v_pk_add_f32 v[4:5], v[2:3], v[0:1] op_sel:[0,1] op_sel_hi:[1,0] neg_lo:[0,1] neg_hi:[0,1]
	v_pk_add_f32 v[0:1], v[2:3], v[0:1] op_sel:[0,1] op_sel_hi:[1,0]
	v_mov_b32_e32 v2, v4
	v_mov_b32_e32 v3, v1
	;; [unrolled: 1-line block ×3, first 2 shown]
	ds_write_b64 v64, v[2:3] offset:7600
	ds_write_b64 v64, v[0:1] offset:11600
.LBB0_9:
	s_or_b64 exec, exec, s[8:9]
	s_waitcnt lgkmcnt(0)
	s_barrier
	ds_read2_b64 v[0:3], v64 offset1:150
	v_mad_u64_u32 v[10:11], s[0:1], s6, v78, 0
	v_mov_b32_e32 v4, v11
	v_mad_u64_u32 v[4:5], s[0:1], s7, v78, v[4:5]
	v_mov_b32_e32 v11, v4
	s_waitcnt lgkmcnt(0)
	v_mul_f32_e32 v4, v89, v1
	v_fmac_f32_e32 v4, v88, v0
	v_mul_f32_e32 v0, v89, v0
	s_mov_b32 s0, 0xc3ece2a5
	v_fma_f32 v0, v88, v1, -v0
	s_mov_b32 s1, 0x3f45d867
	v_cvt_f64_f32_e32 v[0:1], v0
	v_cvt_f64_f32_e32 v[4:5], v4
	v_mul_f64 v[0:1], v[0:1], s[0:1]
	v_mul_f64 v[4:5], v[4:5], s[0:1]
	v_cvt_f32_f64_e32 v13, v[0:1]
	v_mad_u64_u32 v[0:1], s[2:3], s4, v66, 0
	v_cvt_f32_f64_e32 v12, v[4:5]
	v_mov_b32_e32 v4, v1
	v_add_u32_e32 v1, 0x800, v64
	v_mad_u64_u32 v[14:15], s[2:3], s5, v66, v[4:5]
	ds_read2_b64 v[4:7], v1 offset0:44 offset1:194
	v_mov_b32_e32 v8, s12
	v_mov_b32_e32 v9, s13
	;; [unrolled: 1-line block ×3, first 2 shown]
	v_lshl_add_u64 v[8:9], v[10:11], 3, v[8:9]
	v_lshl_add_u64 v[0:1], v[0:1], 3, v[8:9]
	s_waitcnt lgkmcnt(0)
	v_mul_f32_e32 v8, v87, v5
	v_fmac_f32_e32 v8, v86, v4
	v_mul_f32_e32 v4, v87, v4
	v_fma_f32 v4, v86, v5, -v4
	v_cvt_f64_f32_e32 v[4:5], v4
	v_cvt_f64_f32_e32 v[8:9], v8
	v_mul_f64 v[4:5], v[4:5], s[0:1]
	global_store_dwordx2 v[0:1], v[12:13], off
	v_mul_f64 v[8:9], v[8:9], s[0:1]
	v_cvt_f32_f64_e32 v13, v[4:5]
	v_add_u32_e32 v4, 0x1000, v64
	v_cvt_f32_f64_e32 v12, v[8:9]
	ds_read2_b64 v[8:11], v4 offset0:88 offset1:238
	v_mov_b32_e32 v20, 0x960
	v_mad_u64_u32 v[0:1], s[2:3], s4, v20, v[0:1]
	s_mul_i32 s6, s5, 0x960
	s_waitcnt lgkmcnt(0)
	v_mul_f32_e32 v4, v83, v9
	v_fmac_f32_e32 v4, v82, v8
	v_cvt_f64_f32_e32 v[4:5], v4
	v_mul_f64 v[4:5], v[4:5], s[0:1]
	v_cvt_f32_f64_e32 v4, v[4:5]
	v_mul_f32_e32 v5, v83, v8
	v_fma_f32 v5, v82, v9, -v5
	v_cvt_f64_f32_e32 v[8:9], v5
	v_mul_f64 v[8:9], v[8:9], s[0:1]
	v_add_u32_e32 v1, s6, v1
	v_cvt_f32_f64_e32 v5, v[8:9]
	v_add_u32_e32 v8, 0x1c00, v64
	global_store_dwordx2 v[0:1], v[12:13], off
	ds_read2_b64 v[12:15], v8 offset0:4 offset1:154
	v_mad_u64_u32 v[0:1], s[2:3], s4, v20, v[0:1]
	v_add_u32_e32 v1, s6, v1
	global_store_dwordx2 v[0:1], v[4:5], off
	s_waitcnt lgkmcnt(0)
	v_mul_f32_e32 v4, v75, v13
	v_fmac_f32_e32 v4, v74, v12
	v_cvt_f64_f32_e32 v[4:5], v4
	v_mul_f64 v[4:5], v[4:5], s[0:1]
	v_cvt_f32_f64_e32 v4, v[4:5]
	v_mul_f32_e32 v5, v75, v12
	v_fma_f32 v5, v74, v13, -v5
	v_cvt_f64_f32_e32 v[8:9], v5
	v_mul_f64 v[8:9], v[8:9], s[0:1]
	v_cvt_f32_f64_e32 v5, v[8:9]
	v_add_u32_e32 v8, 0x2400, v64
	ds_read2_b64 v[16:19], v8 offset0:48 offset1:198
	v_mad_u64_u32 v[0:1], s[2:3], s4, v20, v[0:1]
	v_add_u32_e32 v1, s6, v1
	global_store_dwordx2 v[0:1], v[4:5], off
	s_waitcnt lgkmcnt(0)
	v_mul_f32_e32 v4, v77, v17
	v_fmac_f32_e32 v4, v76, v16
	v_cvt_f64_f32_e32 v[4:5], v4
	v_mul_f64 v[4:5], v[4:5], s[0:1]
	v_cvt_f32_f64_e32 v4, v[4:5]
	v_mul_f32_e32 v5, v77, v16
	v_fma_f32 v5, v76, v17, -v5
	v_cvt_f64_f32_e32 v[8:9], v5
	v_mul_f64 v[8:9], v[8:9], s[0:1]
	v_mad_u64_u32 v[0:1], s[2:3], s4, v20, v[0:1]
	v_cvt_f32_f64_e32 v5, v[8:9]
	v_add_u32_e32 v1, s6, v1
	global_store_dwordx2 v[0:1], v[4:5], off
	v_mul_f32_e32 v4, v85, v3
	v_fmac_f32_e32 v4, v84, v2
	v_mul_f32_e32 v2, v85, v2
	v_fma_f32 v2, v84, v3, -v2
	v_cvt_f64_f32_e32 v[4:5], v4
	v_cvt_f64_f32_e32 v[2:3], v2
	v_mul_f64 v[4:5], v[4:5], s[0:1]
	v_mul_f64 v[2:3], v[2:3], s[0:1]
	v_cvt_f32_f64_e32 v4, v[4:5]
	v_cvt_f32_f64_e32 v5, v[2:3]
	v_mov_b32_e32 v2, 0xffffdf30
	v_mad_u64_u32 v[0:1], s[2:3], s4, v2, v[0:1]
	v_mul_f32_e32 v2, v73, v7
	v_fmac_f32_e32 v2, v72, v6
	v_cvt_f64_f32_e32 v[2:3], v2
	s_mul_i32 s2, s5, 0xffffdf30
	v_mul_f64 v[2:3], v[2:3], s[0:1]
	s_sub_i32 s2, s2, s4
	v_cvt_f32_f64_e32 v2, v[2:3]
	v_mul_f32_e32 v3, v73, v6
	v_add_u32_e32 v1, s2, v1
	v_fma_f32 v3, v72, v7, -v3
	global_store_dwordx2 v[0:1], v[4:5], off
	v_cvt_f64_f32_e32 v[4:5], v3
	v_mul_f64 v[4:5], v[4:5], s[0:1]
	v_mad_u64_u32 v[0:1], s[2:3], s4, v20, v[0:1]
	v_cvt_f32_f64_e32 v3, v[4:5]
	v_add_u32_e32 v1, s6, v1
	global_store_dwordx2 v[0:1], v[2:3], off
	v_mul_f32_e32 v2, v81, v11
	v_fmac_f32_e32 v2, v80, v10
	v_cvt_f64_f32_e32 v[2:3], v2
	v_mul_f64 v[2:3], v[2:3], s[0:1]
	v_cvt_f32_f64_e32 v2, v[2:3]
	v_mul_f32_e32 v3, v81, v10
	v_fma_f32 v3, v80, v11, -v3
	v_cvt_f64_f32_e32 v[4:5], v3
	v_mul_f64 v[4:5], v[4:5], s[0:1]
	v_mad_u64_u32 v[0:1], s[2:3], s4, v20, v[0:1]
	v_cvt_f32_f64_e32 v3, v[4:5]
	v_add_u32_e32 v1, s6, v1
	global_store_dwordx2 v[0:1], v[2:3], off
	v_mul_f32_e32 v2, v69, v15
	v_fmac_f32_e32 v2, v68, v14
	v_cvt_f64_f32_e32 v[2:3], v2
	v_mul_f64 v[2:3], v[2:3], s[0:1]
	v_cvt_f32_f64_e32 v2, v[2:3]
	v_mul_f32_e32 v3, v69, v14
	v_fma_f32 v3, v68, v15, -v3
	v_cvt_f64_f32_e32 v[4:5], v3
	v_mul_f64 v[4:5], v[4:5], s[0:1]
	v_mad_u64_u32 v[0:1], s[2:3], s4, v20, v[0:1]
	v_cvt_f32_f64_e32 v3, v[4:5]
	v_add_u32_e32 v1, s6, v1
	global_store_dwordx2 v[0:1], v[2:3], off
	v_mul_f32_e32 v2, v71, v19
	v_fmac_f32_e32 v2, v70, v18
	v_cvt_f64_f32_e32 v[2:3], v2
	v_mul_f64 v[2:3], v[2:3], s[0:1]
	v_cvt_f32_f64_e32 v2, v[2:3]
	v_mul_f32_e32 v3, v71, v18
	v_fma_f32 v3, v70, v19, -v3
	v_cvt_f64_f32_e32 v[4:5], v3
	v_mul_f64 v[4:5], v[4:5], s[0:1]
	v_mad_u64_u32 v[0:1], s[0:1], s4, v20, v[0:1]
	v_cvt_f32_f64_e32 v3, v[4:5]
	v_add_u32_e32 v1, s6, v1
	global_store_dwordx2 v[0:1], v[2:3], off
.LBB0_10:
	s_endpgm
	.section	.rodata,"a",@progbits
	.p2align	6, 0x0
	.amdhsa_kernel bluestein_single_fwd_len1500_dim1_sp_op_CI_CI
		.amdhsa_group_segment_fixed_size 12000
		.amdhsa_private_segment_fixed_size 0
		.amdhsa_kernarg_size 104
		.amdhsa_user_sgpr_count 2
		.amdhsa_user_sgpr_dispatch_ptr 0
		.amdhsa_user_sgpr_queue_ptr 0
		.amdhsa_user_sgpr_kernarg_segment_ptr 1
		.amdhsa_user_sgpr_dispatch_id 0
		.amdhsa_user_sgpr_kernarg_preload_length 0
		.amdhsa_user_sgpr_kernarg_preload_offset 0
		.amdhsa_user_sgpr_private_segment_size 0
		.amdhsa_uses_dynamic_stack 0
		.amdhsa_enable_private_segment 0
		.amdhsa_system_sgpr_workgroup_id_x 1
		.amdhsa_system_sgpr_workgroup_id_y 0
		.amdhsa_system_sgpr_workgroup_id_z 0
		.amdhsa_system_sgpr_workgroup_info 0
		.amdhsa_system_vgpr_workitem_id 0
		.amdhsa_next_free_vgpr 164
		.amdhsa_next_free_sgpr 24
		.amdhsa_accum_offset 164
		.amdhsa_reserve_vcc 1
		.amdhsa_float_round_mode_32 0
		.amdhsa_float_round_mode_16_64 0
		.amdhsa_float_denorm_mode_32 3
		.amdhsa_float_denorm_mode_16_64 3
		.amdhsa_dx10_clamp 1
		.amdhsa_ieee_mode 1
		.amdhsa_fp16_overflow 0
		.amdhsa_tg_split 0
		.amdhsa_exception_fp_ieee_invalid_op 0
		.amdhsa_exception_fp_denorm_src 0
		.amdhsa_exception_fp_ieee_div_zero 0
		.amdhsa_exception_fp_ieee_overflow 0
		.amdhsa_exception_fp_ieee_underflow 0
		.amdhsa_exception_fp_ieee_inexact 0
		.amdhsa_exception_int_div_zero 0
	.end_amdhsa_kernel
	.text
.Lfunc_end0:
	.size	bluestein_single_fwd_len1500_dim1_sp_op_CI_CI, .Lfunc_end0-bluestein_single_fwd_len1500_dim1_sp_op_CI_CI
                                        ; -- End function
	.section	.AMDGPU.csdata,"",@progbits
; Kernel info:
; codeLenInByte = 10660
; NumSgprs: 30
; NumVgprs: 164
; NumAgprs: 0
; TotalNumVgprs: 164
; ScratchSize: 0
; MemoryBound: 0
; FloatMode: 240
; IeeeMode: 1
; LDSByteSize: 12000 bytes/workgroup (compile time only)
; SGPRBlocks: 3
; VGPRBlocks: 20
; NumSGPRsForWavesPerEU: 30
; NumVGPRsForWavesPerEU: 164
; AccumOffset: 164
; Occupancy: 3
; WaveLimiterHint : 1
; COMPUTE_PGM_RSRC2:SCRATCH_EN: 0
; COMPUTE_PGM_RSRC2:USER_SGPR: 2
; COMPUTE_PGM_RSRC2:TRAP_HANDLER: 0
; COMPUTE_PGM_RSRC2:TGID_X_EN: 1
; COMPUTE_PGM_RSRC2:TGID_Y_EN: 0
; COMPUTE_PGM_RSRC2:TGID_Z_EN: 0
; COMPUTE_PGM_RSRC2:TIDIG_COMP_CNT: 0
; COMPUTE_PGM_RSRC3_GFX90A:ACCUM_OFFSET: 40
; COMPUTE_PGM_RSRC3_GFX90A:TG_SPLIT: 0
	.text
	.p2alignl 6, 3212836864
	.fill 256, 4, 3212836864
	.type	__hip_cuid_4302ecf69dd537cd,@object ; @__hip_cuid_4302ecf69dd537cd
	.section	.bss,"aw",@nobits
	.globl	__hip_cuid_4302ecf69dd537cd
__hip_cuid_4302ecf69dd537cd:
	.byte	0                               ; 0x0
	.size	__hip_cuid_4302ecf69dd537cd, 1

	.ident	"AMD clang version 19.0.0git (https://github.com/RadeonOpenCompute/llvm-project roc-6.4.0 25133 c7fe45cf4b819c5991fe208aaa96edf142730f1d)"
	.section	".note.GNU-stack","",@progbits
	.addrsig
	.addrsig_sym __hip_cuid_4302ecf69dd537cd
	.amdgpu_metadata
---
amdhsa.kernels:
  - .agpr_count:     0
    .args:
      - .actual_access:  read_only
        .address_space:  global
        .offset:         0
        .size:           8
        .value_kind:     global_buffer
      - .actual_access:  read_only
        .address_space:  global
        .offset:         8
        .size:           8
        .value_kind:     global_buffer
      - .actual_access:  read_only
        .address_space:  global
        .offset:         16
        .size:           8
        .value_kind:     global_buffer
      - .actual_access:  read_only
        .address_space:  global
        .offset:         24
        .size:           8
        .value_kind:     global_buffer
      - .actual_access:  read_only
        .address_space:  global
        .offset:         32
        .size:           8
        .value_kind:     global_buffer
      - .offset:         40
        .size:           8
        .value_kind:     by_value
      - .address_space:  global
        .offset:         48
        .size:           8
        .value_kind:     global_buffer
      - .address_space:  global
        .offset:         56
        .size:           8
        .value_kind:     global_buffer
      - .address_space:  global
        .offset:         64
        .size:           8
        .value_kind:     global_buffer
      - .address_space:  global
        .offset:         72
        .size:           8
        .value_kind:     global_buffer
      - .offset:         80
        .size:           4
        .value_kind:     by_value
      - .address_space:  global
        .offset:         88
        .size:           8
        .value_kind:     global_buffer
      - .address_space:  global
        .offset:         96
        .size:           8
        .value_kind:     global_buffer
    .group_segment_fixed_size: 12000
    .kernarg_segment_align: 8
    .kernarg_segment_size: 104
    .language:       OpenCL C
    .language_version:
      - 2
      - 0
    .max_flat_workgroup_size: 150
    .name:           bluestein_single_fwd_len1500_dim1_sp_op_CI_CI
    .private_segment_fixed_size: 0
    .sgpr_count:     30
    .sgpr_spill_count: 0
    .symbol:         bluestein_single_fwd_len1500_dim1_sp_op_CI_CI.kd
    .uniform_work_group_size: 1
    .uses_dynamic_stack: false
    .vgpr_count:     164
    .vgpr_spill_count: 0
    .wavefront_size: 64
amdhsa.target:   amdgcn-amd-amdhsa--gfx950
amdhsa.version:
  - 1
  - 2
...

	.end_amdgpu_metadata
